;; amdgpu-corpus repo=ROCm/rocFFT kind=compiled arch=gfx1030 opt=O3
	.text
	.amdgcn_target "amdgcn-amd-amdhsa--gfx1030"
	.amdhsa_code_object_version 6
	.protected	bluestein_single_back_len4096_dim1_dp_op_CI_CI ; -- Begin function bluestein_single_back_len4096_dim1_dp_op_CI_CI
	.globl	bluestein_single_back_len4096_dim1_dp_op_CI_CI
	.p2align	8
	.type	bluestein_single_back_len4096_dim1_dp_op_CI_CI,@function
bluestein_single_back_len4096_dim1_dp_op_CI_CI: ; @bluestein_single_back_len4096_dim1_dp_op_CI_CI
; %bb.0:
	s_load_dwordx4 s[12:15], s[4:5], 0x28
	s_mov_b64 s[26:27], s[2:3]
	s_mov_b64 s[24:25], s[0:1]
	v_mov_b32_e32 v197, v0
	s_add_u32 s24, s24, s7
	s_addc_u32 s25, s25, 0
	s_mov_b32 s7, 0
	s_mov_b32 s1, exec_lo
	s_waitcnt lgkmcnt(0)
	v_cmpx_lt_u64_e64 s[6:7], s[12:13]
	s_cbranch_execz .LBB0_2
; %bb.1:
	s_clause 0x1
	s_load_dwordx4 s[0:3], s[4:5], 0x18
	s_load_dwordx4 s[8:11], s[4:5], 0x0
	v_mov_b32_e32 v255, s7
	v_mov_b32_e32 v254, s6
	v_lshlrev_b32_e32 v255, 4, v197
	s_mov_b32 s6, 0x667f3bcd
	s_mov_b32 s7, 0xbfe6a09e
	s_mov_b32 s12, 0xa6aea964
	s_mov_b32 s13, 0xbfd87de2
	v_or_b32_e32 v193, 0x1000, v255
	v_or_b32_e32 v192, 0x3000, v255
	;; [unrolled: 1-line block ×10, first 2 shown]
	v_lshlrev_b32_e32 v198, 8, v197
	s_waitcnt lgkmcnt(0)
	s_load_dwordx4 s[16:19], s[0:1], 0x0
	s_add_u32 s20, s8, 0x10000
	s_addc_u32 s21, s9, 0
	s_waitcnt lgkmcnt(0)
	v_mad_u64_u32 v[1:2], null, s18, v254, 0
	v_mad_u64_u32 v[3:4], null, s16, v197, 0
	s_lshl_b64 s[0:1], s[16:17], 12
	s_mov_b32 s16, s12
	v_mad_u64_u32 v[5:6], null, s19, v254, v[2:3]
	s_mov_b32 s19, 0x3fed906b
	v_mad_u64_u32 v[6:7], null, s17, v197, v[4:5]
	v_mov_b32_e32 v2, v5
	s_mov_b32 s17, 0x3fd87de2
	v_lshlrev_b64 v[1:2], 4, v[1:2]
	v_mov_b32_e32 v4, v6
	v_add_co_u32 v0, vcc_lo, s14, v1
	v_lshlrev_b64 v[3:4], 4, v[3:4]
	v_add_co_ci_u32_e32 v2, vcc_lo, s15, v2, vcc_lo
	s_mov_b32 s14, 0xcf328d46
	s_mov_b32 s15, 0xbfed906b
	;; [unrolled: 1-line block ×3, first 2 shown]
	v_add_co_u32 v1, vcc_lo, v0, v3
	v_add_co_ci_u32_e32 v2, vcc_lo, v2, v4, vcc_lo
	global_load_dwordx4 v[9:12], v255, s[8:9]
	global_load_dwordx4 v[25:28], v[1:2], off
	v_add_co_u32 v1, vcc_lo, v1, s0
	v_add_co_ci_u32_e32 v2, vcc_lo, s1, v2, vcc_lo
	global_load_dwordx4 v[21:24], v193, s[8:9]
	global_load_dwordx4 v[33:36], v[1:2], off
	v_add_co_u32 v1, vcc_lo, v1, s0
	v_or_b32_e32 v0, 0x2000, v255
	v_add_co_ci_u32_e32 v2, vcc_lo, s1, v2, vcc_lo
	global_load_dwordx4 v[13:16], v0, s[8:9]
	global_load_dwordx4 v[37:40], v[1:2], off
	v_add_co_u32 v1, vcc_lo, v1, s0
	v_add_co_ci_u32_e32 v2, vcc_lo, s1, v2, vcc_lo
	global_load_dwordx4 v[17:20], v192, s[8:9]
	global_load_dwordx4 v[41:44], v[1:2], off
	v_add_co_u32 v1, vcc_lo, v1, s0
	;; [unrolled: 4-line block ×5, first 2 shown]
	v_add_co_ci_u32_e32 v2, vcc_lo, s1, v2, vcc_lo
	v_or_b32_e32 v0, 0xc000, v255
	s_waitcnt vmcnt(13)
	buffer_store_dword v9, off, s[24:27], 0 offset:144 ; 4-byte Folded Spill
	buffer_store_dword v10, off, s[24:27], 0 offset:148 ; 4-byte Folded Spill
	;; [unrolled: 1-line block ×4, first 2 shown]
	s_waitcnt vmcnt(10)
	v_mul_f64 v[7:8], v[35:36], v[23:24]
	buffer_store_dword v21, off, s[24:27], 0 offset:160 ; 4-byte Folded Spill
	buffer_store_dword v22, off, s[24:27], 0 offset:164 ; 4-byte Folded Spill
	buffer_store_dword v23, off, s[24:27], 0 offset:168 ; 4-byte Folded Spill
	buffer_store_dword v24, off, s[24:27], 0 offset:172 ; 4-byte Folded Spill
	s_waitcnt vmcnt(9)
	buffer_store_dword v13, off, s[24:27], 0 offset:128 ; 4-byte Folded Spill
	buffer_store_dword v14, off, s[24:27], 0 offset:132 ; 4-byte Folded Spill
	buffer_store_dword v15, off, s[24:27], 0 offset:136 ; 4-byte Folded Spill
	buffer_store_dword v16, off, s[24:27], 0 offset:140 ; 4-byte Folded Spill
	s_waitcnt vmcnt(7)
	;; [unrolled: 5-line block ×5, first 2 shown]
	buffer_store_dword v61, off, s[24:27], 0 offset:16 ; 4-byte Folded Spill
	buffer_store_dword v62, off, s[24:27], 0 offset:20 ; 4-byte Folded Spill
	;; [unrolled: 1-line block ×4, first 2 shown]
	v_mul_f64 v[3:4], v[27:28], v[11:12]
	v_mul_f64 v[5:6], v[25:26], v[11:12]
	v_fma_f64 v[69:70], v[33:34], v[21:22], v[7:8]
	v_mul_f64 v[7:8], v[43:44], v[19:20]
	v_fma_f64 v[65:66], v[25:26], v[9:10], v[3:4]
	v_fma_f64 v[67:68], v[27:28], v[9:10], -v[5:6]
	v_mul_f64 v[3:4], v[33:34], v[23:24]
	v_mul_f64 v[5:6], v[39:40], v[15:16]
	v_fma_f64 v[77:78], v[41:42], v[17:18], v[7:8]
	v_mul_f64 v[7:8], v[51:52], v[59:60]
	v_fma_f64 v[71:72], v[35:36], v[21:22], -v[3:4]
	v_mul_f64 v[3:4], v[37:38], v[15:16]
	v_fma_f64 v[73:74], v[37:38], v[13:14], v[5:6]
	v_mul_f64 v[5:6], v[47:48], v[31:32]
	v_fma_f64 v[85:86], v[49:50], v[57:58], v[7:8]
	global_load_dwordx4 v[7:10], v202, s[8:9]
	s_waitcnt vmcnt(0)
	buffer_store_dword v7, off, s[24:27], 0 offset:80 ; 4-byte Folded Spill
	buffer_store_dword v8, off, s[24:27], 0 offset:84 ; 4-byte Folded Spill
	;; [unrolled: 1-line block ×4, first 2 shown]
	global_load_dwordx4 v[25:28], v[1:2], off
	v_fma_f64 v[75:76], v[39:40], v[13:14], -v[3:4]
	v_mul_f64 v[3:4], v[41:42], v[19:20]
	v_fma_f64 v[81:82], v[45:46], v[29:30], v[5:6]
	v_mul_f64 v[5:6], v[55:56], v[63:64]
	v_add_co_u32 v1, vcc_lo, v1, s0
	v_add_co_ci_u32_e32 v2, vcc_lo, s1, v2, vcc_lo
	v_fma_f64 v[79:80], v[43:44], v[17:18], -v[3:4]
	v_mul_f64 v[3:4], v[45:46], v[31:32]
	v_fma_f64 v[89:90], v[53:54], v[61:62], v[5:6]
	v_fma_f64 v[83:84], v[47:48], v[29:30], -v[3:4]
	v_mul_f64 v[3:4], v[49:50], v[59:60]
	v_fma_f64 v[87:88], v[51:52], v[57:58], -v[3:4]
	v_mul_f64 v[3:4], v[53:54], v[63:64]
	v_fma_f64 v[91:92], v[55:56], v[61:62], -v[3:4]
	s_waitcnt vmcnt(0)
	v_mul_f64 v[3:4], v[27:28], v[9:10]
	v_mul_f64 v[5:6], v[25:26], v[9:10]
	v_fma_f64 v[93:94], v[25:26], v[7:8], v[3:4]
	v_fma_f64 v[95:96], v[27:28], v[7:8], -v[5:6]
	global_load_dwordx4 v[7:10], v199, s[8:9]
	s_waitcnt vmcnt(0)
	buffer_store_dword v7, off, s[24:27], 0 offset:32 ; 4-byte Folded Spill
	buffer_store_dword v8, off, s[24:27], 0 offset:36 ; 4-byte Folded Spill
	;; [unrolled: 1-line block ×4, first 2 shown]
	global_load_dwordx4 v[25:28], v[1:2], off
	v_add_co_u32 v1, vcc_lo, v1, s0
	v_add_co_ci_u32_e32 v2, vcc_lo, s1, v2, vcc_lo
	s_waitcnt vmcnt(0)
	v_mul_f64 v[3:4], v[27:28], v[9:10]
	v_mul_f64 v[5:6], v[25:26], v[9:10]
	v_fma_f64 v[97:98], v[25:26], v[7:8], v[3:4]
	v_fma_f64 v[99:100], v[27:28], v[7:8], -v[5:6]
	global_load_dwordx4 v[45:48], v200, s[8:9]
	global_load_dwordx4 v[25:28], v[1:2], off
	global_load_dwordx4 v[7:10], v194, s[8:9]
	v_add_co_u32 v1, vcc_lo, v1, s0
	v_add_co_ci_u32_e32 v2, vcc_lo, s1, v2, vcc_lo
	s_waitcnt vmcnt(0)
	buffer_store_dword v7, off, s[24:27], 0 offset:96 ; 4-byte Folded Spill
	buffer_store_dword v8, off, s[24:27], 0 offset:100 ; 4-byte Folded Spill
	;; [unrolled: 1-line block ×4, first 2 shown]
	v_mul_f64 v[3:4], v[27:28], v[47:48]
	v_mul_f64 v[5:6], v[25:26], v[47:48]
	v_fma_f64 v[101:102], v[25:26], v[45:46], v[3:4]
	v_fma_f64 v[103:104], v[27:28], v[45:46], -v[5:6]
	global_load_dwordx4 v[25:28], v[1:2], off
	v_add_co_u32 v1, vcc_lo, v1, s0
	v_add_co_ci_u32_e32 v2, vcc_lo, s1, v2, vcc_lo
	s_waitcnt vmcnt(0)
	v_mul_f64 v[3:4], v[27:28], v[9:10]
	v_mul_f64 v[5:6], v[25:26], v[9:10]
	v_fma_f64 v[105:106], v[25:26], v[7:8], v[3:4]
	v_fma_f64 v[107:108], v[27:28], v[7:8], -v[5:6]
	global_load_dwordx4 v[53:56], v195, s[8:9]
	global_load_dwordx4 v[25:28], v[1:2], off
	v_add_co_u32 v1, vcc_lo, v1, s0
	v_add_co_ci_u32_e32 v2, vcc_lo, s1, v2, vcc_lo
	s_waitcnt vmcnt(0)
	v_mul_f64 v[3:4], v[27:28], v[55:56]
	v_mul_f64 v[5:6], v[25:26], v[55:56]
	v_fma_f64 v[109:110], v[25:26], v[53:54], v[3:4]
	v_fma_f64 v[111:112], v[27:28], v[53:54], -v[5:6]
	global_load_dwordx4 v[49:52], v0, s[8:9]
	global_load_dwordx4 v[25:28], v[1:2], off
	v_add_co_u32 v1, vcc_lo, v1, s0
	v_or_b32_e32 v0, 0xd000, v255
	v_add_co_ci_u32_e32 v2, vcc_lo, s1, v2, vcc_lo
	s_waitcnt vmcnt(0)
	v_mul_f64 v[3:4], v[27:28], v[51:52]
	v_mul_f64 v[5:6], v[25:26], v[51:52]
	v_fma_f64 v[113:114], v[25:26], v[49:50], v[3:4]
	v_fma_f64 v[115:116], v[27:28], v[49:50], -v[5:6]
	global_load_dwordx4 v[61:64], v0, s[8:9]
	global_load_dwordx4 v[25:28], v[1:2], off
	v_add_co_u32 v1, vcc_lo, v1, s0
	v_or_b32_e32 v0, 0xe000, v255
	v_add_co_ci_u32_e32 v2, vcc_lo, s1, v2, vcc_lo
	s_waitcnt vmcnt(0)
	v_mul_f64 v[3:4], v[27:28], v[63:64]
	v_mul_f64 v[5:6], v[25:26], v[63:64]
	v_fma_f64 v[117:118], v[25:26], v[61:62], v[3:4]
	v_fma_f64 v[119:120], v[27:28], v[61:62], -v[5:6]
	global_load_dwordx4 v[57:60], v0, s[8:9]
	global_load_dwordx4 v[25:28], v[1:2], off
	v_add_co_u32 v1, vcc_lo, v1, s0
	v_add_co_ci_u32_e32 v2, vcc_lo, s1, v2, vcc_lo
	v_or_b32_e32 v0, 0xf000, v255
	s_waitcnt vmcnt(0)
	v_mul_f64 v[5:6], v[25:26], v[59:60]
	v_mul_f64 v[3:4], v[27:28], v[59:60]
	v_fma_f64 v[123:124], v[27:28], v[57:58], -v[5:6]
	global_load_dwordx4 v[125:128], v[1:2], off
	global_load_dwordx4 v[5:8], v0, s[8:9]
	v_fma_f64 v[121:122], v[25:26], v[57:58], v[3:4]
	s_mov_b32 s9, 0x3fe6a09e
	s_mov_b32 s8, s6
	v_and_b32_e32 v0, 15, v197
	s_waitcnt vmcnt(0)
	buffer_store_dword v5, off, s[24:27], 0 ; 4-byte Folded Spill
	buffer_store_dword v6, off, s[24:27], 0 offset:4 ; 4-byte Folded Spill
	buffer_store_dword v7, off, s[24:27], 0 offset:8 ; 4-byte Folded Spill
	;; [unrolled: 1-line block ×3, first 2 shown]
	v_mul_f64 v[1:2], v[127:128], v[7:8]
	v_mul_f64 v[3:4], v[125:126], v[7:8]
	v_fma_f64 v[125:126], v[125:126], v[5:6], v[1:2]
	v_fma_f64 v[127:128], v[127:128], v[5:6], -v[3:4]
	ds_write_b128 v255, v[65:68]
	ds_write_b128 v255, v[69:72] offset:4096
	ds_write_b128 v255, v[73:76] offset:8192
	;; [unrolled: 1-line block ×15, first 2 shown]
	s_load_dwordx4 s[0:3], s[2:3], 0x0
	s_waitcnt lgkmcnt(0)
	s_waitcnt_vscnt null, 0x0
	s_barrier
	buffer_gl0_inv
	ds_read_b128 v[65:68], v255 offset:32768
	ds_read_b128 v[81:84], v255
	ds_read_b128 v[85:88], v255 offset:4096
	ds_read_b128 v[73:76], v255 offset:36864
	;; [unrolled: 1-line block ×6, first 2 shown]
	s_waitcnt lgkmcnt(6)
	v_add_f64 v[65:66], v[81:82], -v[65:66]
	s_waitcnt lgkmcnt(2)
	v_add_f64 v[1:2], v[89:90], -v[69:70]
	v_add_f64 v[3:4], v[91:92], -v[71:72]
	ds_read_b128 v[69:72], v255 offset:40960
	ds_read_b128 v[101:104], v255 offset:8192
	;; [unrolled: 1-line block ×8, first 2 shown]
	v_add_f64 v[67:68], v[83:84], -v[67:68]
	s_waitcnt lgkmcnt(8)
	v_add_f64 v[99:100], v[95:96], -v[99:100]
	v_add_f64 v[97:98], v[93:94], -v[97:98]
	s_waitcnt lgkmcnt(0)
	s_barrier
	buffer_gl0_inv
	v_add_f64 v[69:70], v[101:102], -v[69:70]
	v_add_f64 v[5:6], v[113:114], -v[77:78]
	;; [unrolled: 1-line block ×10, first 2 shown]
	v_fma_f64 v[121:122], v[81:82], 2.0, -v[65:66]
	v_fma_f64 v[123:124], v[83:84], 2.0, -v[67:68]
	;; [unrolled: 1-line block ×4, first 2 shown]
	v_add_f64 v[3:4], v[65:66], -v[3:4]
	v_add_f64 v[1:2], v[67:68], v[1:2]
	v_fma_f64 v[101:102], v[101:102], 2.0, -v[69:70]
	v_fma_f64 v[89:90], v[113:114], 2.0, -v[5:6]
	;; [unrolled: 1-line block ×12, first 2 shown]
	v_add_f64 v[117:118], v[121:122], -v[81:82]
	v_add_f64 v[119:120], v[123:124], -v[83:84]
	;; [unrolled: 1-line block ×3, first 2 shown]
	v_add_f64 v[5:6], v[71:72], v[5:6]
	v_add_f64 v[145:146], v[77:78], -v[99:100]
	v_add_f64 v[109:110], v[79:80], -v[109:110]
	v_add_f64 v[147:148], v[73:74], v[97:98]
	v_add_f64 v[111:112], v[75:76], v[111:112]
	v_add_f64 v[125:126], v[101:102], -v[89:90]
	v_add_f64 v[131:132], v[115:116], -v[87:88]
	;; [unrolled: 1-line block ×6, first 2 shown]
	v_fma_f64 v[77:78], v[77:78], 2.0, -v[145:146]
	v_fma_f64 v[79:80], v[79:80], 2.0, -v[109:110]
	v_add_f64 v[139:140], v[119:120], v[125:126]
	v_fma_f64 v[115:116], v[115:116], 2.0, -v[131:132]
	v_add_f64 v[87:88], v[131:132], v[135:136]
	v_add_f64 v[137:138], v[117:118], -v[127:128]
	v_fma_f64 v[113:114], v[113:114], 2.0, -v[129:130]
	v_add_f64 v[85:86], v[129:130], -v[133:134]
	v_fma_f64 v[143:144], v[119:120], 2.0, -v[139:140]
	v_fma_f64 v[119:120], v[123:124], 2.0, -v[119:120]
	v_fma_f64 v[83:84], v[87:88], s[8:9], v[139:140]
	v_fma_f64 v[141:142], v[117:118], 2.0, -v[137:138]
	v_fma_f64 v[117:118], v[121:122], 2.0, -v[117:118]
	v_fma_f64 v[81:82], v[85:86], s[8:9], v[137:138]
	v_fma_f64 v[89:90], v[129:130], 2.0, -v[85:86]
	v_fma_f64 v[83:84], v[85:86], s[8:9], v[83:84]
	;; [unrolled: 2-line block ×3, first 2 shown]
	v_fma_f64 v[87:88], v[89:90], s[6:7], v[141:142]
	v_fma_f64 v[91:92], v[85:86], s[6:7], v[143:144]
	ds_write_b128 v198, v[81:84] offset:224
	v_fma_f64 v[85:86], v[85:86], s[6:7], v[87:88]
	v_fma_f64 v[87:88], v[89:90], s[8:9], v[91:92]
	;; [unrolled: 1-line block ×5, first 2 shown]
	v_fma_f64 v[5:6], v[71:72], 2.0, -v[5:6]
	v_fma_f64 v[153:154], v[3:4], 2.0, -v[149:150]
	v_fma_f64 v[151:152], v[7:8], s[8:9], v[89:90]
	v_fma_f64 v[89:90], v[109:110], s[8:9], v[145:146]
	v_fma_f64 v[3:4], v[65:66], 2.0, -v[3:4]
	v_fma_f64 v[7:8], v[69:70], 2.0, -v[7:8]
	;; [unrolled: 1-line block ×5, first 2 shown]
	v_fma_f64 v[93:94], v[111:112], s[6:7], v[89:90]
	v_fma_f64 v[89:90], v[111:112], s[8:9], v[147:148]
	v_fma_f64 v[1:2], v[67:68], 2.0, -v[1:2]
	v_fma_f64 v[67:68], v[79:80], s[6:7], v[77:78]
	v_fma_f64 v[97:98], v[145:146], 2.0, -v[93:94]
	v_fma_f64 v[95:96], v[109:110], s[8:9], v[89:90]
	v_fma_f64 v[89:90], v[93:94], s[18:19], v[149:150]
	;; [unrolled: 1-line block ×9, first 2 shown]
	v_fma_f64 v[93:94], v[147:148], 2.0, -v[95:96]
	v_fma_f64 v[95:96], v[97:98], s[12:13], v[153:154]
	v_fma_f64 v[69:70], v[69:70], 2.0, -v[71:72]
	ds_write_b128 v198, v[89:92] offset:240
	v_fma_f64 v[99:100], v[93:94], s[12:13], v[155:156]
	v_fma_f64 v[93:94], v[93:94], s[14:15], v[95:96]
	;; [unrolled: 1-line block ×3, first 2 shown]
	v_fma_f64 v[97:98], v[101:102], 2.0, -v[125:126]
	v_fma_f64 v[99:100], v[103:104], 2.0, -v[127:128]
	;; [unrolled: 1-line block ×4, first 2 shown]
	v_add_f64 v[105:106], v[117:118], -v[97:98]
	v_add_f64 v[107:108], v[119:120], -v[99:100]
	;; [unrolled: 1-line block ×4, first 2 shown]
	v_fma_f64 v[79:80], v[119:120], 2.0, -v[107:108]
	v_add_f64 v[97:98], v[105:106], -v[121:122]
	v_add_f64 v[99:100], v[107:108], v[123:124]
	v_fma_f64 v[75:76], v[115:116], 2.0, -v[121:122]
	v_fma_f64 v[101:102], v[105:106], 2.0, -v[97:98]
	ds_write_b128 v198, v[97:100] offset:192
	v_fma_f64 v[97:98], v[137:138], 2.0, -v[81:82]
	v_fma_f64 v[81:82], v[149:150], 2.0, -v[89:90]
	v_fma_f64 v[89:90], v[7:8], s[8:9], v[65:66]
	v_fma_f64 v[7:8], v[7:8], s[6:7], v[3:4]
	v_add_f64 v[75:76], v[79:80], -v[75:76]
	v_fma_f64 v[103:104], v[107:108], 2.0, -v[99:100]
	v_fma_f64 v[99:100], v[139:140], 2.0, -v[83:84]
	;; [unrolled: 1-line block ×3, first 2 shown]
	ds_write_b128 v198, v[101:104] offset:64
	ds_write_b128 v198, v[97:100] offset:96
	;; [unrolled: 1-line block ×3, first 2 shown]
	v_fma_f64 v[5:6], v[5:6], s[6:7], v[7:8]
	v_fma_f64 v[7:8], v[77:78], 2.0, -v[67:68]
	v_fma_f64 v[65:66], v[71:72], s[16:17], v[89:90]
	v_fma_f64 v[1:2], v[1:2], 2.0, -v[89:90]
	v_fma_f64 v[79:80], v[79:80], 2.0, -v[75:76]
	;; [unrolled: 1-line block ×4, first 2 shown]
	ds_write_b128 v198, v[85:88] offset:160
	ds_write_b128 v198, v[93:96] offset:176
	v_fma_f64 v[73:74], v[67:68], s[16:17], v[5:6]
	v_fma_f64 v[3:4], v[3:4], 2.0, -v[5:6]
	v_fma_f64 v[67:68], v[67:68], s[18:19], v[65:66]
	v_fma_f64 v[65:66], v[71:72], s[14:15], v[73:74]
	;; [unrolled: 1-line block ×6, first 2 shown]
	v_fma_f64 v[7:8], v[117:118], 2.0, -v[105:106]
	v_fma_f64 v[73:74], v[113:114], 2.0, -v[123:124]
	v_add_f64 v[73:74], v[7:8], -v[73:74]
	v_fma_f64 v[77:78], v[7:8], 2.0, -v[73:74]
	ds_write_b128 v198, v[73:76] offset:128
	v_fma_f64 v[73:74], v[141:142], 2.0, -v[85:86]
	v_fma_f64 v[75:76], v[143:144], 2.0, -v[87:88]
	;; [unrolled: 1-line block ×4, first 2 shown]
	ds_write_b128 v198, v[65:68] offset:208
	ds_write_b128 v198, v[77:80]
	ds_write_b128 v198, v[73:76] offset:32
	ds_write_b128 v198, v[81:84] offset:48
	;; [unrolled: 1-line block ×3, first 2 shown]
	v_fma_f64 v[65:66], v[3:4], 2.0, -v[69:70]
	v_fma_f64 v[67:68], v[1:2], 2.0, -v[71:72]
	v_mad_u64_u32 v[1:2], null, 0xf0, v0, s[10:11]
	ds_write_b128 v198, v[69:72] offset:144
	ds_write_b128 v198, v[65:68] offset:16
	s_waitcnt lgkmcnt(0)
	s_barrier
	buffer_gl0_inv
	s_clause 0x1
	global_load_dwordx4 v[65:68], v[1:2], off
	global_load_dwordx4 v[85:88], v[1:2], off offset:16
	ds_read_b128 v[69:72], v255 offset:4096
	ds_read_b128 v[73:76], v255
	v_or_b32_e32 v0, v255, v197
	v_and_b32_e32 v0, 0xf0f, v0
	s_waitcnt vmcnt(1) lgkmcnt(1)
	v_mul_f64 v[3:4], v[71:72], v[67:68]
	v_mul_f64 v[5:6], v[69:70], v[67:68]
	v_fma_f64 v[3:4], v[69:70], v[65:66], -v[3:4]
	v_fma_f64 v[5:6], v[71:72], v[65:66], v[5:6]
	ds_read_b128 v[69:72], v255 offset:8192
	ds_read_b128 v[77:80], v255 offset:12288
	s_clause 0x1
	global_load_dwordx4 v[153:156], v[1:2], off offset:32
	global_load_dwordx4 v[137:140], v[1:2], off offset:48
	s_waitcnt vmcnt(2) lgkmcnt(1)
	v_mul_f64 v[7:8], v[71:72], v[87:88]
	v_fma_f64 v[7:8], v[69:70], v[85:86], -v[7:8]
	v_mul_f64 v[69:70], v[69:70], v[87:88]
	v_fma_f64 v[109:110], v[71:72], v[85:86], v[69:70]
	s_waitcnt vmcnt(1) lgkmcnt(0)
	v_mul_f64 v[69:70], v[79:80], v[155:156]
	v_fma_f64 v[111:112], v[77:78], v[153:154], -v[69:70]
	v_mul_f64 v[69:70], v[77:78], v[155:156]
	v_fma_f64 v[113:114], v[79:80], v[153:154], v[69:70]
	ds_read_b128 v[69:72], v255 offset:16384
	ds_read_b128 v[77:80], v255 offset:20480
	s_clause 0x1
	global_load_dwordx4 v[161:164], v[1:2], off offset:64
	global_load_dwordx4 v[141:144], v[1:2], off offset:80
	s_waitcnt vmcnt(2) lgkmcnt(1)
	v_mul_f64 v[81:82], v[71:72], v[139:140]
	v_fma_f64 v[115:116], v[69:70], v[137:138], -v[81:82]
	v_mul_f64 v[69:70], v[69:70], v[139:140]
	v_fma_f64 v[117:118], v[71:72], v[137:138], v[69:70]
	s_waitcnt vmcnt(1) lgkmcnt(0)
	v_mul_f64 v[69:70], v[79:80], v[163:164]
	v_fma_f64 v[119:120], v[77:78], v[161:162], -v[69:70]
	v_mul_f64 v[69:70], v[77:78], v[163:164]
	;; [unrolled: 15-line block ×3, first 2 shown]
	v_fma_f64 v[129:130], v[79:80], v[165:166], v[69:70]
	ds_read_b128 v[69:72], v255 offset:32768
	ds_read_b128 v[77:80], v255 offset:36864
	global_load_dwordx4 v[169:172], v[1:2], off offset:176
	s_waitcnt vmcnt(1) lgkmcnt(1)
	v_mul_f64 v[81:82], v[71:72], v[151:152]
	v_fma_f64 v[97:98], v[69:70], v[149:150], -v[81:82]
	v_mul_f64 v[69:70], v[69:70], v[151:152]
	v_fma_f64 v[99:100], v[71:72], v[149:150], v[69:70]
	ds_read_b128 v[69:72], v255 offset:49152
	ds_read_b128 v[81:84], v255 offset:53248
	s_clause 0x2
	global_load_dwordx4 v[173:176], v[1:2], off offset:144
	global_load_dwordx4 v[145:148], v[1:2], off offset:128
	;; [unrolled: 1-line block ×3, first 2 shown]
	s_waitcnt vmcnt(3) lgkmcnt(1)
	v_mul_f64 v[89:90], v[71:72], v[171:172]
	v_fma_f64 v[101:102], v[69:70], v[169:170], -v[89:90]
	v_mul_f64 v[69:70], v[69:70], v[171:172]
	ds_read_b128 v[89:92], v255 offset:45056
	v_fma_f64 v[103:104], v[71:72], v[169:170], v[69:70]
	ds_read_b128 v[69:72], v255 offset:40960
	s_clause 0x1
	global_load_dwordx4 v[177:180], v[1:2], off offset:208
	global_load_dwordx4 v[157:160], v[1:2], off offset:192
	s_waitcnt vmcnt(4) lgkmcnt(0)
	v_mul_f64 v[93:94], v[71:72], v[175:176]
	v_fma_f64 v[105:106], v[69:70], v[173:174], -v[93:94]
	v_mul_f64 v[69:70], v[69:70], v[175:176]
	v_fma_f64 v[107:108], v[71:72], v[173:174], v[69:70]
	ds_read_b128 v[69:72], v255 offset:57344
	ds_read_b128 v[93:96], v255 offset:61440
	global_load_dwordx4 v[181:184], v[1:2], off offset:224
	s_waitcnt vmcnt(0) lgkmcnt(0)
	s_barrier
	buffer_gl0_inv
	v_mul_f64 v[131:132], v[71:72], v[179:180]
	v_fma_f64 v[131:132], v[69:70], v[177:178], -v[131:132]
	v_mul_f64 v[69:70], v[69:70], v[179:180]
	v_fma_f64 v[185:186], v[71:72], v[177:178], v[69:70]
	v_mul_f64 v[69:70], v[79:80], v[147:148]
	v_add_f64 v[71:72], v[75:76], -v[99:100]
	v_mul_f64 v[1:2], v[93:94], v[183:184]
	v_fma_f64 v[187:188], v[77:78], v[145:146], -v[69:70]
	v_mul_f64 v[69:70], v[77:78], v[147:148]
	v_fma_f64 v[1:2], v[95:96], v[181:182], v[1:2]
	v_fma_f64 v[77:78], v[79:80], v[145:146], v[69:70]
	v_mul_f64 v[69:70], v[83:84], v[159:160]
	v_add_f64 v[77:78], v[5:6], -v[77:78]
	v_fma_f64 v[79:80], v[81:82], v[157:158], -v[69:70]
	v_mul_f64 v[69:70], v[81:82], v[159:160]
	v_add_f64 v[81:82], v[3:4], -v[187:188]
	v_fma_f64 v[5:6], v[5:6], 2.0, -v[77:78]
	v_add_f64 v[99:100], v[119:120], -v[79:80]
	v_fma_f64 v[83:84], v[83:84], v[157:158], v[69:70]
	v_mul_f64 v[69:70], v[91:92], v[135:136]
	v_fma_f64 v[3:4], v[3:4], 2.0, -v[81:82]
	v_fma_f64 v[119:120], v[119:120], 2.0, -v[99:100]
	v_add_f64 v[222:223], v[77:78], v[99:100]
	v_fma_f64 v[203:204], v[89:90], v[133:134], -v[69:70]
	v_mul_f64 v[69:70], v[89:90], v[135:136]
	v_add_f64 v[119:120], v[3:4], -v[119:120]
	v_fma_f64 v[205:206], v[91:92], v[133:134], v[69:70]
	v_mul_f64 v[69:70], v[95:96], v[183:184]
	v_fma_f64 v[91:92], v[75:76], 2.0, -v[71:72]
	v_add_f64 v[95:96], v[117:118], -v[103:104]
	v_add_f64 v[75:76], v[109:110], -v[107:108]
	;; [unrolled: 1-line block ×5, first 2 shown]
	v_lshlrev_b32_e32 v203, 4, v0
	v_fma_f64 v[3:4], v[3:4], 2.0, -v[119:120]
	v_add_f64 v[79:80], v[113:114], -v[205:206]
	v_fma_f64 v[207:208], v[93:94], v[181:182], -v[69:70]
	v_add_f64 v[69:70], v[73:74], -v[97:98]
	v_add_f64 v[93:94], v[115:116], -v[101:102]
	;; [unrolled: 1-line block ×4, first 2 shown]
	v_fma_f64 v[121:122], v[121:122], 2.0, -v[103:104]
	v_add_f64 v[220:221], v[81:82], -v[103:104]
	v_add_f64 v[224:225], v[83:84], -v[107:108]
	v_fma_f64 v[131:132], v[113:114], 2.0, -v[79:80]
	v_fma_f64 v[89:90], v[73:74], 2.0, -v[69:70]
	v_add_f64 v[73:74], v[7:8], -v[105:106]
	v_add_f64 v[105:106], v[127:128], -v[207:208]
	v_fma_f64 v[1:2], v[115:116], 2.0, -v[93:94]
	v_fma_f64 v[115:116], v[117:118], 2.0, -v[95:96]
	;; [unrolled: 1-line block ×7, first 2 shown]
	v_add_f64 v[121:122], v[5:6], -v[121:122]
	v_add_f64 v[216:217], v[71:72], v[93:94]
	v_add_f64 v[218:219], v[75:76], v[97:98]
	v_fma_f64 v[81:82], v[81:82], 2.0, -v[220:221]
	v_fma_f64 v[83:84], v[83:84], 2.0, -v[224:225]
	;; [unrolled: 1-line block ×4, first 2 shown]
	v_add_f64 v[1:2], v[89:90], -v[1:2]
	v_add_f64 v[127:128], v[91:92], -v[115:116]
	v_add_f64 v[226:227], v[79:80], v[105:106]
	v_add_f64 v[123:124], v[117:118], -v[123:124]
	v_add_f64 v[185:186], v[131:132], -v[111:112]
	v_fma_f64 v[5:6], v[5:6], 2.0, -v[121:122]
	v_add_f64 v[129:130], v[7:8], -v[109:110]
	v_add_f64 v[187:188], v[125:126], -v[113:114]
	;; [unrolled: 1-line block ×4, first 2 shown]
	v_add_f64 v[206:207], v[127:128], v[129:130]
	v_add_f64 v[115:116], v[121:122], v[187:188]
	v_fma_f64 v[7:8], v[7:8], 2.0, -v[129:130]
	v_fma_f64 v[210:211], v[1:2], 2.0, -v[204:205]
	;; [unrolled: 1-line block ×3, first 2 shown]
	v_fma_f64 v[109:110], v[113:114], s[8:9], v[204:205]
	v_fma_f64 v[208:209], v[119:120], 2.0, -v[113:114]
	v_fma_f64 v[89:90], v[117:118], 2.0, -v[123:124]
	;; [unrolled: 1-line block ×3, first 2 shown]
	v_fma_f64 v[111:112], v[115:116], s[8:9], v[206:207]
	v_fma_f64 v[127:128], v[91:92], 2.0, -v[127:128]
	v_fma_f64 v[91:92], v[131:132], 2.0, -v[185:186]
	v_add_f64 v[7:8], v[1:2], -v[7:8]
	v_fma_f64 v[109:110], v[115:116], s[6:7], v[109:110]
	v_fma_f64 v[111:112], v[113:114], s[8:9], v[111:112]
	v_fma_f64 v[113:114], v[121:122], 2.0, -v[115:116]
	v_fma_f64 v[115:116], v[208:209], s[6:7], v[210:211]
	v_add_f64 v[117:118], v[127:128], -v[89:90]
	v_add_f64 v[119:120], v[5:6], -v[91:92]
	v_fma_f64 v[1:2], v[1:2], 2.0, -v[7:8]
	ds_write_b128 v203, v[109:112] offset:3584
	v_fma_f64 v[214:215], v[113:114], s[6:7], v[212:213]
	v_fma_f64 v[113:114], v[113:114], s[6:7], v[115:116]
	v_add_f64 v[89:90], v[7:8], -v[119:120]
	v_fma_f64 v[5:6], v[5:6], 2.0, -v[119:120]
	v_fma_f64 v[115:116], v[208:209], s[8:9], v[214:215]
	v_add_f64 v[208:209], v[69:70], -v[95:96]
	v_add_f64 v[214:215], v[73:74], -v[101:102]
	v_fma_f64 v[93:94], v[214:215], s[8:9], v[208:209]
	v_fma_f64 v[105:106], v[218:219], s[6:7], v[93:94]
	;; [unrolled: 1-line block ×3, first 2 shown]
	v_fma_f64 v[228:229], v[208:209], 2.0, -v[105:106]
	v_fma_f64 v[107:108], v[214:215], s[8:9], v[93:94]
	v_fma_f64 v[93:94], v[224:225], s[8:9], v[220:221]
	v_fma_f64 v[230:231], v[216:217], 2.0, -v[107:108]
	v_fma_f64 v[97:98], v[226:227], s[6:7], v[93:94]
	v_fma_f64 v[93:94], v[226:227], s[8:9], v[222:223]
	;; [unrolled: 3-line block ×3, first 2 shown]
	v_fma_f64 v[95:96], v[99:100], s[18:19], v[107:108]
	v_fma_f64 v[93:94], v[99:100], s[12:13], v[93:94]
	;; [unrolled: 1-line block ×3, first 2 shown]
	v_fma_f64 v[97:98], v[222:223], 2.0, -v[99:100]
	v_fma_f64 v[99:100], v[101:102], s[12:13], v[228:229]
	v_fma_f64 v[105:106], v[105:106], 2.0, -v[93:94]
	v_fma_f64 v[107:108], v[107:108], 2.0, -v[95:96]
	v_fma_f64 v[103:104], v[97:98], s[12:13], v[230:231]
	v_fma_f64 v[97:98], v[97:98], s[14:15], v[99:100]
	ds_write_b128 v203, v[93:96] offset:3840
	v_fma_f64 v[95:96], v[71:72], 2.0, -v[216:217]
	v_fma_f64 v[71:72], v[75:76], 2.0, -v[218:219]
	;; [unrolled: 1-line block ×6, first 2 shown]
	v_fma_f64 v[77:78], v[83:84], s[6:7], v[81:82]
	v_fma_f64 v[99:100], v[101:102], s[18:19], v[103:104]
	v_fma_f64 v[101:102], v[125:126], 2.0, -v[187:188]
	v_fma_f64 v[79:80], v[71:72], s[6:7], v[95:96]
	v_fma_f64 v[77:78], v[75:76], s[6:7], v[77:78]
	v_fma_f64 v[75:76], v[75:76], s[6:7], v[73:74]
	v_add_f64 v[121:122], v[3:4], -v[101:102]
	v_fma_f64 v[101:102], v[7:8], 2.0, -v[89:90]
	v_fma_f64 v[7:8], v[127:128], 2.0, -v[117:118]
	v_fma_f64 v[75:76], v[83:84], s[8:9], v[75:76]
	v_add_f64 v[91:92], v[117:118], v[121:122]
	v_fma_f64 v[3:4], v[3:4], 2.0, -v[121:122]
	v_fma_f64 v[73:74], v[73:74], 2.0, -v[75:76]
	ds_write_b128 v203, v[89:92] offset:3072
	v_fma_f64 v[89:90], v[204:205], 2.0, -v[109:110]
	v_fma_f64 v[109:110], v[69:70], s[8:9], v[79:80]
	v_fma_f64 v[69:70], v[69:70], s[6:7], v[93:94]
	v_fma_f64 v[103:104], v[117:118], 2.0, -v[91:92]
	v_fma_f64 v[91:92], v[206:207], 2.0, -v[111:112]
	;; [unrolled: 1-line block ×3, first 2 shown]
	ds_write_b128 v203, v[101:104] offset:1024
	ds_write_b128 v203, v[89:92] offset:1536
	;; [unrolled: 1-line block ×3, first 2 shown]
	v_fma_f64 v[111:112], v[71:72], s[6:7], v[69:70]
	v_fma_f64 v[69:70], v[75:76], s[16:17], v[109:110]
	v_fma_f64 v[125:126], v[95:96], 2.0, -v[109:110]
	v_fma_f64 v[89:90], v[228:229], 2.0, -v[97:98]
	;; [unrolled: 1-line block ×3, first 2 shown]
	ds_write_b128 v203, v[113:116] offset:2560
	ds_write_b128 v203, v[97:100] offset:2816
	v_fma_f64 v[81:82], v[77:78], s[16:17], v[111:112]
	v_fma_f64 v[123:124], v[93:94], 2.0, -v[111:112]
	v_fma_f64 v[71:72], v[77:78], s[18:19], v[69:70]
	v_fma_f64 v[77:78], v[73:74], s[14:15], v[125:126]
	;; [unrolled: 1-line block ×4, first 2 shown]
	v_fma_f64 v[95:96], v[109:110], 2.0, -v[71:72]
	v_fma_f64 v[93:94], v[111:112], 2.0, -v[69:70]
	v_fma_f64 v[73:74], v[73:74], s[12:13], v[75:76]
	v_fma_f64 v[75:76], v[79:80], s[16:17], v[77:78]
	v_add_f64 v[77:78], v[1:2], -v[3:4]
	v_add_f64 v[79:80], v[7:8], -v[5:6]
	v_fma_f64 v[81:82], v[1:2], 2.0, -v[77:78]
	v_fma_f64 v[83:84], v[7:8], 2.0, -v[79:80]
	ds_write_b128 v203, v[77:80] offset:2048
	v_fma_f64 v[77:78], v[210:211], 2.0, -v[113:114]
	v_fma_f64 v[79:80], v[212:213], 2.0, -v[115:116]
	ds_write_b128 v203, v[69:72] offset:3328
	ds_write_b128 v203, v[81:84]
	ds_write_b128 v203, v[77:80] offset:512
	ds_write_b128 v203, v[89:92] offset:768
	;; [unrolled: 1-line block ×3, first 2 shown]
	v_fma_f64 v[69:70], v[123:124], 2.0, -v[73:74]
	v_fma_f64 v[71:72], v[125:126], 2.0, -v[75:76]
	v_mad_u64_u32 v[1:2], null, 0xf0, v197, s[10:11]
	ds_write_b128 v203, v[73:76] offset:2304
	ds_write_b128 v203, v[69:72] offset:256
	v_add_co_u32 v3, vcc_lo, 0x800, v1
	v_add_co_ci_u32_e32 v4, vcc_lo, 0, v2, vcc_lo
	s_waitcnt lgkmcnt(0)
	s_barrier
	buffer_gl0_inv
	global_load_dwordx4 v[69:72], v[3:4], off offset:1792
	v_add_co_u32 v5, vcc_lo, 0xf00, v1
	v_add_co_ci_u32_e32 v6, vcc_lo, 0, v2, vcc_lo
	ds_read_b128 v[77:80], v255 offset:4096
	ds_read_b128 v[204:207], v255
	v_add_co_u32 v105, vcc_lo, 0xf40, v1
	s_clause 0x2
	global_load_dwordx4 v[73:76], v[5:6], off offset:48
	global_load_dwordx4 v[97:100], v[5:6], off offset:16
	;; [unrolled: 1-line block ×3, first 2 shown]
	v_add_co_ci_u32_e32 v106, vcc_lo, 0, v2, vcc_lo
	v_add_co_u32 v129, vcc_lo, 0xf80, v1
	v_add_co_ci_u32_e32 v130, vcc_lo, 0, v2, vcc_lo
	v_add_co_u32 v1, vcc_lo, 0xfc0, v1
	v_add_co_ci_u32_e32 v2, vcc_lo, 0, v2, vcc_lo
	s_waitcnt vmcnt(3) lgkmcnt(1)
	v_mul_f64 v[7:8], v[79:80], v[71:72]
	v_fma_f64 v[9:10], v[77:78], v[69:70], -v[7:8]
	v_mul_f64 v[77:78], v[77:78], v[71:72]
	v_fma_f64 v[185:186], v[79:80], v[69:70], v[77:78]
	ds_read_b128 v[77:80], v255 offset:8192
	ds_read_b128 v[81:84], v255 offset:12288
	s_waitcnt vmcnt(1) lgkmcnt(1)
	v_mul_f64 v[5:6], v[79:80], v[99:100]
	v_fma_f64 v[7:8], v[77:78], v[97:98], -v[5:6]
	v_mul_f64 v[77:78], v[77:78], v[99:100]
	v_fma_f64 v[187:188], v[79:80], v[97:98], v[77:78]
	s_waitcnt vmcnt(0) lgkmcnt(0)
	v_mul_f64 v[77:78], v[83:84], v[95:96]
	v_fma_f64 v[212:213], v[81:82], v[93:94], -v[77:78]
	v_mul_f64 v[77:78], v[81:82], v[95:96]
	v_fma_f64 v[214:215], v[83:84], v[93:94], v[77:78]
	ds_read_b128 v[77:80], v255 offset:16384
	ds_read_b128 v[81:84], v255 offset:20480
	s_waitcnt lgkmcnt(1)
	v_mul_f64 v[89:90], v[79:80], v[75:76]
	v_fma_f64 v[216:217], v[77:78], v[73:74], -v[89:90]
	v_mul_f64 v[77:78], v[77:78], v[75:76]
	v_fma_f64 v[218:219], v[79:80], v[73:74], v[77:78]
	s_clause 0x1
	global_load_dwordx4 v[101:104], v[3:4], off offset:1856
	global_load_dwordx4 v[77:80], v[3:4], off offset:1920
	s_waitcnt vmcnt(1) lgkmcnt(0)
	v_mul_f64 v[89:90], v[83:84], v[103:104]
	v_fma_f64 v[220:221], v[81:82], v[101:102], -v[89:90]
	v_mul_f64 v[81:82], v[81:82], v[103:104]
	v_fma_f64 v[222:223], v[83:84], v[101:102], v[81:82]
	s_clause 0x1
	global_load_dwordx4 v[81:84], v[3:4], off offset:1984
	global_load_dwordx4 v[109:112], v[105:106], off offset:16
	ds_read_b128 v[89:92], v255 offset:24576
	ds_read_b128 v[117:120], v255 offset:28672
	s_clause 0x1
	global_load_dwordx4 v[113:116], v[105:106], off offset:32
	global_load_dwordx4 v[105:108], v[105:106], off offset:48
	s_waitcnt vmcnt(2) lgkmcnt(1)
	v_mul_f64 v[3:4], v[91:92], v[111:112]
	v_fma_f64 v[5:6], v[89:90], v[109:110], -v[3:4]
	v_mul_f64 v[89:90], v[89:90], v[111:112]
	v_fma_f64 v[224:225], v[91:92], v[109:110], v[89:90]
	s_waitcnt vmcnt(1) lgkmcnt(0)
	v_mul_f64 v[89:90], v[119:120], v[115:116]
	v_fma_f64 v[226:227], v[117:118], v[113:114], -v[89:90]
	v_mul_f64 v[89:90], v[117:118], v[115:116]
	v_fma_f64 v[228:229], v[119:120], v[113:114], v[89:90]
	ds_read_b128 v[89:92], v255 offset:32768
	ds_read_b128 v[117:120], v255 offset:36864
	s_waitcnt vmcnt(0) lgkmcnt(1)
	v_mul_f64 v[121:122], v[91:92], v[107:108]
	v_fma_f64 v[230:231], v[89:90], v[105:106], -v[121:122]
	v_mul_f64 v[89:90], v[89:90], v[107:108]
	v_add_f64 v[230:231], v[204:205], -v[230:231]
	v_fma_f64 v[232:233], v[91:92], v[105:106], v[89:90]
	s_waitcnt lgkmcnt(0)
	v_mul_f64 v[89:90], v[119:120], v[79:80]
	v_fma_f64 v[41:42], v[204:205], 2.0, -v[230:231]
	v_add_f64 v[232:233], v[206:207], -v[232:233]
	v_fma_f64 v[234:235], v[117:118], v[77:78], -v[89:90]
	v_mul_f64 v[89:90], v[117:118], v[79:80]
	v_fma_f64 v[37:38], v[206:207], 2.0, -v[232:233]
	v_add_f64 v[234:235], v[9:10], -v[234:235]
	v_fma_f64 v[236:237], v[119:120], v[77:78], v[89:90]
	s_clause 0x1
	global_load_dwordx4 v[117:120], v[129:130], off offset:16
	global_load_dwordx4 v[89:92], v[129:130], off offset:32
	ds_read_b128 v[121:124], v255 offset:40960
	ds_read_b128 v[125:128], v255 offset:45056
	v_fma_f64 v[29:30], v[9:10], 2.0, -v[234:235]
	v_add_f64 v[236:237], v[185:186], -v[236:237]
	v_fma_f64 v[185:186], v[185:186], 2.0, -v[236:237]
	s_waitcnt vmcnt(1) lgkmcnt(1)
	v_mul_f64 v[131:132], v[123:124], v[119:120]
	v_fma_f64 v[238:239], v[121:122], v[117:118], -v[131:132]
	v_mul_f64 v[121:122], v[121:122], v[119:120]
	v_add_f64 v[238:239], v[7:8], -v[238:239]
	v_fma_f64 v[240:241], v[123:124], v[117:118], v[121:122]
	s_waitcnt vmcnt(0) lgkmcnt(0)
	v_mul_f64 v[121:122], v[127:128], v[91:92]
	v_fma_f64 v[33:34], v[7:8], 2.0, -v[238:239]
	v_add_f64 v[240:241], v[187:188], -v[240:241]
	v_fma_f64 v[242:243], v[125:126], v[89:90], -v[121:122]
	v_mul_f64 v[121:122], v[125:126], v[91:92]
	v_fma_f64 v[187:188], v[187:188], 2.0, -v[240:241]
	v_add_f64 v[242:243], v[212:213], -v[242:243]
	v_fma_f64 v[244:245], v[127:128], v[89:90], v[121:122]
	s_clause 0x1
	global_load_dwordx4 v[129:132], v[129:130], off offset:48
	global_load_dwordx4 v[121:124], v[1:2], off offset:16
	ds_read_b128 v[125:128], v255 offset:49152
	ds_read_b128 v[208:211], v255 offset:53248
	v_add_f64 v[244:245], v[214:215], -v[244:245]
	s_waitcnt vmcnt(1) lgkmcnt(1)
	v_mul_f64 v[246:247], v[127:128], v[131:132]
	v_fma_f64 v[246:247], v[125:126], v[129:130], -v[246:247]
	v_mul_f64 v[125:126], v[125:126], v[131:132]
	v_add_f64 v[246:247], v[216:217], -v[246:247]
	v_fma_f64 v[248:249], v[127:128], v[129:130], v[125:126]
	s_waitcnt lgkmcnt(0)
	v_mul_f64 v[125:126], v[210:211], v[83:84]
	v_fma_f64 v[204:205], v[216:217], 2.0, -v[246:247]
	v_add_f64 v[248:249], v[218:219], -v[248:249]
	v_fma_f64 v[250:251], v[208:209], v[81:82], -v[125:126]
	v_mul_f64 v[125:126], v[208:209], v[83:84]
	v_add_f64 v[246:247], v[232:233], v[246:247]
	v_fma_f64 v[206:207], v[218:219], 2.0, -v[248:249]
	v_add_f64 v[250:251], v[220:221], -v[250:251]
	v_fma_f64 v[252:253], v[210:211], v[81:82], v[125:126]
	ds_read_b128 v[125:128], v255 offset:57344
	ds_read_b128 v[208:211], v255 offset:61440
	v_add_f64 v[248:249], v[230:231], -v[248:249]
	s_waitcnt vmcnt(0) lgkmcnt(1)
	v_mul_f64 v[189:190], v[127:128], v[123:124]
	v_add_f64 v[252:253], v[222:223], -v[252:253]
	v_fma_f64 v[189:190], v[125:126], v[121:122], -v[189:190]
	v_mul_f64 v[125:126], v[125:126], v[123:124]
	v_fma_f64 v[216:217], v[222:223], 2.0, -v[252:253]
	v_fma_f64 v[222:223], v[214:215], 2.0, -v[244:245]
	v_add_f64 v[252:253], v[234:235], -v[252:253]
	v_add_f64 v[189:190], v[5:6], -v[189:190]
	v_fma_f64 v[3:4], v[127:128], v[121:122], v[125:126]
	global_load_dwordx4 v[125:128], v[1:2], off offset:32
	v_add_f64 v[19:20], v[185:186], -v[216:217]
	v_fma_f64 v[5:6], v[5:6], 2.0, -v[189:190]
	v_add_f64 v[15:16], v[224:225], -v[3:4]
	v_add_f64 v[189:190], v[240:241], v[189:190]
	v_add_f64 v[21:22], v[33:34], -v[5:6]
	v_fma_f64 v[35:36], v[189:190], s[8:9], v[246:247]
	s_waitcnt vmcnt(0) lgkmcnt(0)
	v_mul_f64 v[1:2], v[210:211], v[127:128]
	v_mul_f64 v[11:12], v[208:209], v[127:128]
	v_fma_f64 v[1:2], v[208:209], v[125:126], -v[1:2]
	v_fma_f64 v[11:12], v[210:211], v[125:126], v[11:12]
	v_fma_f64 v[210:211], v[220:221], 2.0, -v[250:251]
	v_fma_f64 v[220:221], v[212:213], 2.0, -v[242:243]
	;; [unrolled: 1-line block ×3, first 2 shown]
	v_add_f64 v[224:225], v[41:42], -v[204:205]
	v_add_f64 v[15:16], v[238:239], -v[15:16]
	v_add_f64 v[250:251], v[236:237], v[250:251]
	v_add_f64 v[13:14], v[226:227], -v[1:2]
	v_add_f64 v[11:12], v[228:229], -v[11:12]
	;; [unrolled: 1-line block ×3, first 2 shown]
	v_fma_f64 v[35:36], v[15:16], s[8:9], v[35:36]
	v_fma_f64 v[214:215], v[226:227], 2.0, -v[13:14]
	v_fma_f64 v[212:213], v[228:229], 2.0, -v[11:12]
	v_add_f64 v[226:227], v[37:38], -v[206:207]
	v_add_f64 v[228:229], v[187:188], -v[208:209]
	;; [unrolled: 1-line block ×3, first 2 shown]
	v_add_f64 v[12:13], v[244:245], v[13:14]
	v_fma_f64 v[43:44], v[246:247], 2.0, -v[35:36]
	v_add_f64 v[23:24], v[220:221], -v[214:215]
	v_add_f64 v[17:18], v[222:223], -v[212:213]
	v_add_f64 v[27:28], v[226:227], v[21:22]
	v_add_f64 v[8:9], v[224:225], -v[228:229]
	v_fma_f64 v[37:38], v[37:38], 2.0, -v[226:227]
	v_fma_f64 v[21:22], v[33:34], 2.0, -v[21:22]
	;; [unrolled: 1-line block ×3, first 2 shown]
	v_add_f64 v[210:211], v[19:20], v[23:24]
	v_add_f64 v[208:209], v[4:5], -v[17:18]
	v_fma_f64 v[31:32], v[226:227], 2.0, -v[27:28]
	v_fma_f64 v[25:26], v[224:225], 2.0, -v[8:9]
	;; [unrolled: 1-line block ×4, first 2 shown]
	v_fma_f64 v[206:207], v[210:211], s[8:9], v[27:28]
	v_fma_f64 v[204:205], v[208:209], s[8:9], v[8:9]
	v_fma_f64 v[212:213], v[4:5], 2.0, -v[208:209]
	v_fma_f64 v[4:5], v[29:30], 2.0, -v[4:5]
	v_add_f64 v[29:30], v[37:38], -v[33:34]
	v_fma_f64 v[33:34], v[240:241], 2.0, -v[189:190]
	v_fma_f64 v[206:207], v[208:209], s[8:9], v[206:207]
	v_fma_f64 v[208:209], v[19:20], 2.0, -v[210:211]
	v_fma_f64 v[204:205], v[210:211], s[6:7], v[204:205]
	v_fma_f64 v[210:211], v[212:213], s[6:7], v[25:26]
	v_fma_f64 v[19:20], v[185:186], 2.0, -v[19:20]
	v_add_f64 v[23:24], v[4:5], -v[23:24]
	v_fma_f64 v[214:215], v[208:209], s[6:7], v[31:32]
	ds_write_b128 v255, v[204:207] offset:57344
	v_fma_f64 v[208:209], v[208:209], s[6:7], v[210:211]
	v_add_f64 v[17:18], v[19:20], -v[17:18]
	v_add_f64 v[222:223], v[29:30], v[23:24]
	v_fma_f64 v[4:5], v[4:5], 2.0, -v[23:24]
	v_fma_f64 v[210:211], v[212:213], s[8:9], v[214:215]
	v_fma_f64 v[212:213], v[15:16], s[8:9], v[248:249]
	v_fma_f64 v[14:15], v[238:239], 2.0, -v[15:16]
	v_fma_f64 v[226:227], v[29:30], 2.0, -v[222:223]
	v_fma_f64 v[2:3], v[189:190], s[6:7], v[212:213]
	v_fma_f64 v[212:213], v[10:11], s[8:9], v[252:253]
	v_fma_f64 v[6:7], v[248:249], 2.0, -v[2:3]
	v_fma_f64 v[216:217], v[12:13], s[6:7], v[212:213]
	v_fma_f64 v[212:213], v[12:13], s[8:9], v[250:251]
	v_fma_f64 v[12:13], v[244:245], 2.0, -v[12:13]
	v_fma_f64 v[0:1], v[252:253], 2.0, -v[216:217]
	v_fma_f64 v[218:219], v[10:11], s[8:9], v[212:213]
	v_fma_f64 v[212:213], v[216:217], s[18:19], v[2:3]
	v_fma_f64 v[39:40], v[250:251], 2.0, -v[218:219]
	v_fma_f64 v[214:215], v[218:219], s[18:19], v[35:36]
	v_fma_f64 v[212:213], v[218:219], s[12:13], v[212:213]
	;; [unrolled: 1-line block ×6, first 2 shown]
	v_fma_f64 v[0:1], v[41:42], 2.0, -v[224:225]
	v_fma_f64 v[216:217], v[39:40], s[14:15], v[216:217]
	ds_write_b128 v255, v[212:215] offset:61440
	v_add_f64 v[21:22], v[0:1], -v[21:22]
	v_add_f64 v[220:221], v[21:22], -v[17:18]
	v_fma_f64 v[0:1], v[0:1], 2.0, -v[21:22]
	v_fma_f64 v[224:225], v[21:22], 2.0, -v[220:221]
	ds_write_b128 v255, v[220:223] offset:49152
	v_fma_f64 v[220:221], v[8:9], 2.0, -v[204:205]
	v_fma_f64 v[204:205], v[2:3], 2.0, -v[212:213]
	;; [unrolled: 1-line block ×9, first 2 shown]
	ds_write_b128 v255, v[224:227] offset:16384
	ds_write_b128 v255, v[220:223] offset:24576
	;; [unrolled: 1-line block ×3, first 2 shown]
	v_fma_f64 v[39:40], v[8:9], s[6:7], v[2:3]
	v_add_f64 v[204:205], v[0:1], -v[4:5]
	ds_write_b128 v255, v[208:211] offset:40960
	ds_write_b128 v255, v[216:219] offset:45056
	v_fma_f64 v[39:40], v[12:13], s[6:7], v[39:40]
	v_fma_f64 v[12:13], v[12:13], s[6:7], v[35:36]
	v_fma_f64 v[220:221], v[0:1], 2.0, -v[204:205]
	v_fma_f64 v[2:3], v[2:3], 2.0, -v[39:40]
	v_fma_f64 v[8:9], v[8:9], s[8:9], v[12:13]
	v_fma_f64 v[12:13], v[33:34], s[6:7], v[27:28]
	;; [unrolled: 1-line block ×4, first 2 shown]
	v_fma_f64 v[27:28], v[27:28], 2.0, -v[12:13]
	v_fma_f64 v[14:15], v[33:34], s[6:7], v[14:15]
	v_fma_f64 v[33:34], v[8:9], s[16:17], v[12:13]
	;; [unrolled: 1-line block ×3, first 2 shown]
	v_fma_f64 v[10:11], v[10:11], 2.0, -v[14:15]
	v_fma_f64 v[214:215], v[39:40], s[18:19], v[33:34]
	v_fma_f64 v[212:213], v[8:9], s[14:15], v[41:42]
	v_fma_f64 v[8:9], v[35:36], 2.0, -v[8:9]
	v_fma_f64 v[33:34], v[2:3], s[14:15], v[10:11]
	v_fma_f64 v[35:36], v[8:9], s[14:15], v[27:28]
	;; [unrolled: 1-line block ×3, first 2 shown]
	v_fma_f64 v[8:9], v[19:20], 2.0, -v[17:18]
	v_fma_f64 v[230:231], v[2:3], s[16:17], v[35:36]
	v_fma_f64 v[2:3], v[37:38], 2.0, -v[29:30]
	v_add_f64 v[206:207], v[2:3], -v[8:9]
	v_fma_f64 v[222:223], v[2:3], 2.0, -v[206:207]
	ds_write_b128 v255, v[204:207] offset:32768
	v_fma_f64 v[204:205], v[25:26], 2.0, -v[208:209]
	v_fma_f64 v[206:207], v[31:32], 2.0, -v[210:211]
	;; [unrolled: 1-line block ×6, first 2 shown]
	ds_write_b128 v255, v[212:215] offset:53248
	ds_write_b128 v255, v[220:223]
	ds_write_b128 v255, v[204:207] offset:8192
	ds_write_b128 v255, v[208:211] offset:12288
	;; [unrolled: 1-line block ×3, first 2 shown]
	v_fma_f64 v[204:205], v[10:11], 2.0, -v[228:229]
	v_fma_f64 v[206:207], v[27:28], 2.0, -v[230:231]
	ds_write_b128 v255, v[228:231] offset:36864
	ds_write_b128 v255, v[204:207] offset:4096
	s_waitcnt lgkmcnt(0)
	s_barrier
	buffer_gl0_inv
	s_clause 0x1
	global_load_dwordx4 v[204:207], v193, s[20:21]
	global_load_dwordx4 v[208:211], v255, s[20:21]
	ds_read_b128 v[212:215], v255
	ds_read_b128 v[216:219], v255 offset:4096
	s_waitcnt vmcnt(0) lgkmcnt(1)
	v_mul_f64 v[0:1], v[214:215], v[210:211]
	v_mul_f64 v[2:3], v[212:213], v[210:211]
	v_fma_f64 v[210:211], v[212:213], v[208:209], -v[0:1]
	s_waitcnt lgkmcnt(0)
	v_mul_f64 v[0:1], v[218:219], v[206:207]
	v_fma_f64 v[212:213], v[214:215], v[208:209], v[2:3]
	v_mul_f64 v[2:3], v[216:217], v[206:207]
	v_fma_f64 v[206:207], v[216:217], v[204:205], -v[0:1]
	v_or_b32_e32 v0, 0x2000, v255
	v_fma_f64 v[208:209], v[218:219], v[204:205], v[2:3]
	s_clause 0x1
	global_load_dwordx4 v[214:217], v0, s[20:21]
	global_load_dwordx4 v[218:221], v192, s[20:21]
	ds_read_b128 v[222:225], v255 offset:8192
	ds_read_b128 v[226:229], v255 offset:12288
	s_waitcnt vmcnt(1) lgkmcnt(1)
	v_mul_f64 v[0:1], v[224:225], v[216:217]
	v_mul_f64 v[2:3], v[222:223], v[216:217]
	v_fma_f64 v[222:223], v[222:223], v[214:215], -v[0:1]
	v_fma_f64 v[224:225], v[224:225], v[214:215], v[2:3]
	s_waitcnt vmcnt(0) lgkmcnt(0)
	v_mul_f64 v[0:1], v[228:229], v[220:221]
	v_mul_f64 v[2:3], v[226:227], v[220:221]
	v_fma_f64 v[214:215], v[226:227], v[218:219], -v[0:1]
	v_fma_f64 v[216:217], v[228:229], v[218:219], v[2:3]
	s_clause 0x1
	global_load_dwordx4 v[218:221], v196, s[20:21]
	global_load_dwordx4 v[226:229], v191, s[20:21]
	ds_read_b128 v[230:233], v255 offset:16384
	ds_read_b128 v[234:237], v255 offset:20480
	s_waitcnt vmcnt(1) lgkmcnt(1)
	v_mul_f64 v[0:1], v[232:233], v[220:221]
	v_mul_f64 v[2:3], v[230:231], v[220:221]
	v_fma_f64 v[230:231], v[230:231], v[218:219], -v[0:1]
	v_fma_f64 v[232:233], v[232:233], v[218:219], v[2:3]
	s_waitcnt vmcnt(0) lgkmcnt(0)
	v_mul_f64 v[0:1], v[236:237], v[228:229]
	v_mul_f64 v[2:3], v[234:235], v[228:229]
	v_fma_f64 v[218:219], v[234:235], v[226:227], -v[0:1]
	;; [unrolled: 15-line block ×4, first 2 shown]
	v_fma_f64 v[236:237], v[248:249], v[199:200], v[2:3]
	s_clause 0x1
	global_load_dwordx4 v[191:194], v194, s[20:21]
	global_load_dwordx4 v[199:202], v195, s[20:21]
	ds_read_b128 v[246:249], v255 offset:40960
	ds_read_b128 v[250:253], v255 offset:45056
	s_waitcnt vmcnt(1) lgkmcnt(1)
	v_mul_f64 v[0:1], v[248:249], v[193:194]
	v_mul_f64 v[2:3], v[246:247], v[193:194]
	v_fma_f64 v[193:194], v[246:247], v[191:192], -v[0:1]
	s_waitcnt vmcnt(0) lgkmcnt(0)
	v_mul_f64 v[0:1], v[252:253], v[201:202]
	v_fma_f64 v[195:196], v[248:249], v[191:192], v[2:3]
	v_mul_f64 v[2:3], v[250:251], v[201:202]
	v_fma_f64 v[246:247], v[250:251], v[199:200], -v[0:1]
	v_or_b32_e32 v0, 0xc000, v255
	v_fma_f64 v[248:249], v[252:253], v[199:200], v[2:3]
	global_load_dwordx4 v[199:202], v0, s[20:21]
	v_or_b32_e32 v0, 0xd000, v255
	global_load_dwordx4 v[189:192], v0, s[20:21]
	ds_read_b128 v[250:253], v255 offset:49152
	ds_read_b128 v[185:188], v255 offset:53248
	s_waitcnt vmcnt(1) lgkmcnt(1)
	v_mul_f64 v[0:1], v[252:253], v[201:202]
	v_mul_f64 v[2:3], v[250:251], v[201:202]
	v_fma_f64 v[250:251], v[250:251], v[199:200], -v[0:1]
	s_waitcnt vmcnt(0) lgkmcnt(0)
	v_mul_f64 v[0:1], v[187:188], v[191:192]
	v_fma_f64 v[252:253], v[252:253], v[199:200], v[2:3]
	v_mul_f64 v[2:3], v[185:186], v[191:192]
	v_fma_f64 v[185:186], v[185:186], v[189:190], -v[0:1]
	v_or_b32_e32 v0, 0xe000, v255
	v_fma_f64 v[187:188], v[187:188], v[189:190], v[2:3]
	global_load_dwordx4 v[189:192], v0, s[20:21]
	v_or_b32_e32 v0, 0xf000, v255
	global_load_dwordx4 v[199:202], v0, s[20:21]
	ds_read_b128 v[0:3], v255 offset:57344
	ds_read_b128 v[4:7], v255 offset:61440
	s_waitcnt vmcnt(1) lgkmcnt(1)
	v_mul_f64 v[9:10], v[2:3], v[191:192]
	v_mul_f64 v[11:12], v[0:1], v[191:192]
	v_fma_f64 v[0:1], v[0:1], v[189:190], -v[9:10]
	v_fma_f64 v[2:3], v[2:3], v[189:190], v[11:12]
	s_waitcnt vmcnt(0) lgkmcnt(0)
	v_mul_f64 v[9:10], v[6:7], v[201:202]
	v_mul_f64 v[11:12], v[4:5], v[201:202]
	v_fma_f64 v[4:5], v[4:5], v[199:200], -v[9:10]
	v_fma_f64 v[6:7], v[6:7], v[199:200], v[11:12]
	ds_write_b128 v255, v[210:213]
	ds_write_b128 v255, v[206:209] offset:4096
	ds_write_b128 v255, v[222:225] offset:8192
	ds_write_b128 v255, v[214:217] offset:12288
	ds_write_b128 v255, v[230:233] offset:16384
	ds_write_b128 v255, v[218:221] offset:20480
	ds_write_b128 v255, v[238:241] offset:24576
	ds_write_b128 v255, v[226:229] offset:28672
	ds_write_b128 v255, v[242:245] offset:32768
	ds_write_b128 v255, v[234:237] offset:36864
	ds_write_b128 v255, v[193:196] offset:40960
	ds_write_b128 v255, v[246:249] offset:45056
	ds_write_b128 v255, v[250:253] offset:49152
	ds_write_b128 v255, v[185:188] offset:53248
	ds_write_b128 v255, v[0:3] offset:57344
	ds_write_b128 v255, v[4:7] offset:61440
	s_waitcnt lgkmcnt(0)
	s_barrier
	buffer_gl0_inv
	ds_read_b128 v[0:3], v255 offset:32768
	ds_read_b128 v[4:7], v255
	ds_read_b128 v[185:188], v255 offset:4096
	ds_read_b128 v[189:192], v255 offset:36864
	s_waitcnt lgkmcnt(2)
	v_add_f64 v[9:10], v[4:5], -v[0:1]
	v_add_f64 v[11:12], v[6:7], -v[2:3]
	ds_read_b128 v[0:3], v255 offset:49152
	ds_read_b128 v[193:196], v255 offset:16384
	;; [unrolled: 1-line block ×4, first 2 shown]
	s_waitcnt lgkmcnt(4)
	v_add_f64 v[25:26], v[185:186], -v[189:190]
	v_add_f64 v[27:28], v[187:188], -v[191:192]
	s_waitcnt lgkmcnt(2)
	v_add_f64 v[13:14], v[193:194], -v[0:1]
	v_add_f64 v[15:16], v[195:196], -v[2:3]
	ds_read_b128 v[0:3], v255 offset:40960
	ds_read_b128 v[208:211], v255 offset:8192
	;; [unrolled: 1-line block ×4, first 2 shown]
	s_waitcnt lgkmcnt(4)
	v_add_f64 v[29:30], v[199:200], -v[204:205]
	v_add_f64 v[31:32], v[201:202], -v[206:207]
	v_fma_f64 v[41:42], v[4:5], 2.0, -v[9:10]
	v_fma_f64 v[43:44], v[6:7], 2.0, -v[11:12]
	;; [unrolled: 1-line block ×4, first 2 shown]
	s_waitcnt lgkmcnt(2)
	v_add_f64 v[17:18], v[208:209], -v[0:1]
	v_add_f64 v[19:20], v[210:211], -v[2:3]
	ds_read_b128 v[0:3], v255 offset:57344
	ds_read_b128 v[220:223], v255 offset:24576
	;; [unrolled: 1-line block ×4, first 2 shown]
	s_waitcnt lgkmcnt(4)
	v_add_f64 v[33:34], v[212:213], -v[216:217]
	v_add_f64 v[35:36], v[214:215], -v[218:219]
	v_fma_f64 v[185:186], v[199:200], 2.0, -v[29:30]
	v_fma_f64 v[187:188], v[201:202], 2.0, -v[31:32]
	v_add_f64 v[31:32], v[25:26], v[31:32]
	v_add_f64 v[29:30], v[27:28], -v[29:30]
	s_waitcnt lgkmcnt(0)
	s_barrier
	buffer_gl0_inv
	v_add_f64 v[21:22], v[220:221], -v[0:1]
	v_add_f64 v[23:24], v[222:223], -v[2:3]
	;; [unrolled: 1-line block ×4, first 2 shown]
	v_fma_f64 v[0:1], v[193:194], 2.0, -v[13:14]
	v_fma_f64 v[2:3], v[195:196], 2.0, -v[15:16]
	;; [unrolled: 1-line block ×6, first 2 shown]
	v_add_f64 v[218:219], v[206:207], -v[187:188]
	v_add_f64 v[216:217], v[204:205], -v[185:186]
	v_add_f64 v[15:16], v[9:10], v[15:16]
	v_add_f64 v[13:14], v[11:12], -v[13:14]
	v_fma_f64 v[25:26], v[25:26], 2.0, -v[31:32]
	v_fma_f64 v[4:5], v[220:221], 2.0, -v[21:22]
	v_fma_f64 v[6:7], v[222:223], 2.0, -v[23:24]
	v_fma_f64 v[191:192], v[224:225], 2.0, -v[39:40]
	v_fma_f64 v[189:190], v[226:227], 2.0, -v[37:38]
	v_add_f64 v[208:209], v[41:42], -v[0:1]
	v_add_f64 v[210:211], v[43:44], -v[2:3]
	v_add_f64 v[23:24], v[17:18], v[23:24]
	v_add_f64 v[21:22], v[19:20], -v[21:22]
	v_add_f64 v[37:38], v[33:34], v[37:38]
	v_add_f64 v[39:40], v[35:36], -v[39:40]
	v_fma_f64 v[9:10], v[9:10], 2.0, -v[15:16]
	v_fma_f64 v[11:12], v[11:12], 2.0, -v[13:14]
	v_add_f64 v[212:213], v[193:194], -v[4:5]
	v_add_f64 v[214:215], v[195:196], -v[6:7]
	v_add_f64 v[222:223], v[199:200], -v[191:192]
	v_add_f64 v[220:221], v[201:202], -v[189:190]
	v_fma_f64 v[41:42], v[41:42], 2.0, -v[208:209]
	v_fma_f64 v[43:44], v[43:44], 2.0, -v[210:211]
	v_add_f64 v[226:227], v[210:211], -v[212:213]
	v_add_f64 v[224:225], v[208:209], v[214:215]
	v_add_f64 v[6:7], v[218:219], -v[222:223]
	v_add_f64 v[4:5], v[216:217], v[220:221]
	v_fma_f64 v[193:194], v[193:194], 2.0, -v[212:213]
	v_fma_f64 v[195:196], v[195:196], 2.0, -v[214:215]
	;; [unrolled: 1-line block ×6, first 2 shown]
	v_fma_f64 v[2:3], v[6:7], s[8:9], v[226:227]
	v_fma_f64 v[0:1], v[4:5], s[8:9], v[224:225]
	v_fma_f64 v[185:186], v[216:217], 2.0, -v[4:5]
	v_fma_f64 v[208:209], v[204:205], 2.0, -v[216:217]
	;; [unrolled: 1-line block ×3, first 2 shown]
	v_add_f64 v[212:213], v[41:42], -v[193:194]
	v_add_f64 v[214:215], v[43:44], -v[195:196]
	v_fma_f64 v[2:3], v[4:5], s[6:7], v[2:3]
	v_fma_f64 v[4:5], v[218:219], 2.0, -v[6:7]
	v_fma_f64 v[0:1], v[6:7], s[8:9], v[0:1]
	v_fma_f64 v[6:7], v[185:186], s[6:7], v[228:229]
	v_add_f64 v[216:217], v[210:211], -v[201:202]
	v_add_f64 v[218:219], v[208:209], -v[199:200]
	v_fma_f64 v[187:188], v[4:5], s[6:7], v[230:231]
	ds_write_b128 v198, v[0:3] offset:224
	v_fma_f64 v[4:5], v[4:5], s[8:9], v[6:7]
	v_add_f64 v[193:194], v[212:213], v[216:217]
	v_add_f64 v[195:196], v[214:215], -v[218:219]
	v_fma_f64 v[6:7], v[185:186], s[6:7], v[187:188]
	v_fma_f64 v[185:186], v[23:24], s[8:9], v[15:16]
	v_fma_f64 v[199:200], v[212:213], 2.0, -v[193:194]
	v_fma_f64 v[201:202], v[214:215], 2.0, -v[195:196]
	ds_write_b128 v198, v[193:196] offset:192
	v_fma_f64 v[193:194], v[224:225], 2.0, -v[0:1]
	v_fma_f64 v[195:196], v[226:227], 2.0, -v[2:3]
	v_fma_f64 v[232:233], v[21:22], s[8:9], v[185:186]
	v_fma_f64 v[185:186], v[21:22], s[8:9], v[13:14]
	v_fma_f64 v[238:239], v[15:16], 2.0, -v[232:233]
	v_fma_f64 v[234:235], v[23:24], s[6:7], v[185:186]
	v_fma_f64 v[185:186], v[37:38], s[8:9], v[31:32]
	v_fma_f64 v[15:16], v[19:20], 2.0, -v[21:22]
	v_fma_f64 v[19:20], v[35:36], 2.0, -v[39:40]
	;; [unrolled: 1-line block ×3, first 2 shown]
	v_fma_f64 v[189:190], v[39:40], s[8:9], v[185:186]
	v_fma_f64 v[185:186], v[39:40], s[8:9], v[29:30]
	v_fma_f64 v[13:14], v[17:18], 2.0, -v[23:24]
	v_fma_f64 v[17:18], v[27:28], 2.0, -v[29:30]
	v_fma_f64 v[23:24], v[15:16], s[6:7], v[11:12]
	v_fma_f64 v[236:237], v[31:32], 2.0, -v[189:190]
	v_fma_f64 v[31:32], v[33:34], 2.0, -v[37:38]
	v_fma_f64 v[191:192], v[37:38], s[6:7], v[185:186]
	v_fma_f64 v[185:186], v[189:190], s[18:19], v[232:233]
	;; [unrolled: 1-line block ×7, first 2 shown]
	v_fma_f64 v[11:12], v[11:12], 2.0, -v[23:24]
	v_fma_f64 v[13:14], v[15:16], s[8:9], v[13:14]
	v_fma_f64 v[21:22], v[19:20], s[8:9], v[21:22]
	;; [unrolled: 1-line block ×4, first 2 shown]
	v_fma_f64 v[0:1], v[232:233], 2.0, -v[185:186]
	v_fma_f64 v[9:10], v[9:10], 2.0, -v[13:14]
	;; [unrolled: 1-line block ×3, first 2 shown]
	v_fma_f64 v[191:192], v[236:237], s[12:13], v[238:239]
	v_fma_f64 v[15:16], v[25:26], 2.0, -v[21:22]
	v_fma_f64 v[19:20], v[31:32], s[6:7], v[19:20]
	v_fma_f64 v[27:28], v[21:22], s[16:17], v[13:14]
	v_fma_f64 v[2:3], v[234:235], 2.0, -v[187:188]
	ds_write_b128 v198, v[185:188] offset:240
	ds_write_b128 v198, v[199:202] offset:64
	;; [unrolled: 1-line block ×4, first 2 shown]
	v_fma_f64 v[25:26], v[19:20], s[16:17], v[23:24]
	v_fma_f64 v[17:18], v[17:18], 2.0, -v[19:20]
	v_fma_f64 v[185:186], v[19:20], s[18:19], v[27:28]
	v_fma_f64 v[19:20], v[15:16], s[14:15], v[9:10]
	v_fma_f64 v[0:1], v[208:209], 2.0, -v[218:219]
	v_fma_f64 v[2:3], v[210:211], 2.0, -v[216:217]
	v_fma_f64 v[242:243], v[189:190], s[12:13], v[240:241]
	v_fma_f64 v[189:190], v[189:190], s[18:19], v[191:192]
	ds_write_b128 v198, v[4:7] offset:160
	v_fma_f64 v[187:188], v[21:22], s[14:15], v[25:26]
	v_fma_f64 v[21:22], v[17:18], s[14:15], v[11:12]
	;; [unrolled: 1-line block ×3, first 2 shown]
	v_fma_f64 v[17:18], v[43:44], 2.0, -v[214:215]
	v_fma_f64 v[191:192], v[236:237], s[14:15], v[242:243]
	v_fma_f64 v[206:207], v[15:16], s[12:13], v[21:22]
	v_fma_f64 v[15:16], v[41:42], 2.0, -v[212:213]
	v_add_f64 v[2:3], v[17:18], -v[2:3]
	ds_write_b128 v198, v[189:192] offset:176
	v_add_f64 v[0:1], v[15:16], -v[0:1]
	v_fma_f64 v[195:196], v[17:18], 2.0, -v[2:3]
	v_fma_f64 v[193:194], v[15:16], 2.0, -v[0:1]
	ds_write_b128 v198, v[0:3] offset:128
	v_fma_f64 v[0:1], v[228:229], 2.0, -v[4:5]
	v_fma_f64 v[2:3], v[230:231], 2.0, -v[6:7]
	;; [unrolled: 1-line block ×6, first 2 shown]
	ds_write_b128 v198, v[185:188] offset:208
	ds_write_b128 v198, v[193:196]
	ds_write_b128 v198, v[0:3] offset:32
	ds_write_b128 v198, v[4:7] offset:48
	;; [unrolled: 1-line block ×3, first 2 shown]
	v_fma_f64 v[0:1], v[9:10], 2.0, -v[204:205]
	v_fma_f64 v[2:3], v[11:12], 2.0, -v[206:207]
	ds_write_b128 v198, v[204:207] offset:144
	ds_write_b128 v198, v[0:3] offset:16
	s_waitcnt lgkmcnt(0)
	s_barrier
	buffer_gl0_inv
	ds_read_b128 v[0:3], v255 offset:4096
	ds_read_b128 v[4:7], v255
	s_waitcnt lgkmcnt(1)
	v_mul_f64 v[9:10], v[67:68], v[2:3]
	v_fma_f64 v[9:10], v[65:66], v[0:1], v[9:10]
	v_mul_f64 v[0:1], v[67:68], v[0:1]
	v_fma_f64 v[11:12], v[65:66], v[2:3], -v[0:1]
	ds_read_b128 v[0:3], v255 offset:8192
	ds_read_b128 v[65:68], v255 offset:12288
	s_waitcnt lgkmcnt(1)
	v_mul_f64 v[13:14], v[87:88], v[2:3]
	v_fma_f64 v[13:14], v[85:86], v[0:1], v[13:14]
	v_mul_f64 v[0:1], v[87:88], v[0:1]
	v_fma_f64 v[15:16], v[85:86], v[2:3], -v[0:1]
	s_waitcnt lgkmcnt(0)
	v_mul_f64 v[0:1], v[155:156], v[67:68]
	v_fma_f64 v[17:18], v[153:154], v[65:66], v[0:1]
	v_mul_f64 v[0:1], v[155:156], v[65:66]
	v_fma_f64 v[19:20], v[153:154], v[67:68], -v[0:1]
	ds_read_b128 v[0:3], v255 offset:16384
	ds_read_b128 v[65:68], v255 offset:20480
	s_waitcnt lgkmcnt(1)
	v_mul_f64 v[21:22], v[139:140], v[2:3]
	v_fma_f64 v[21:22], v[137:138], v[0:1], v[21:22]
	v_mul_f64 v[0:1], v[139:140], v[0:1]
	v_fma_f64 v[23:24], v[137:138], v[2:3], -v[0:1]
	;; [unrolled: 12-line block ×3, first 2 shown]
	s_waitcnt lgkmcnt(0)
	v_mul_f64 v[0:1], v[167:168], v[67:68]
	v_fma_f64 v[33:34], v[165:166], v[65:66], v[0:1]
	v_mul_f64 v[0:1], v[167:168], v[65:66]
	v_fma_f64 v[35:36], v[165:166], v[67:68], -v[0:1]
	ds_read_b128 v[0:3], v255 offset:32768
	ds_read_b128 v[65:68], v255 offset:36864
	s_waitcnt lgkmcnt(1)
	v_mul_f64 v[37:38], v[151:152], v[2:3]
	v_fma_f64 v[37:38], v[149:150], v[0:1], v[37:38]
	v_mul_f64 v[0:1], v[151:152], v[0:1]
	v_add_f64 v[37:38], v[4:5], -v[37:38]
	v_fma_f64 v[39:40], v[149:150], v[2:3], -v[0:1]
	ds_read_b128 v[0:3], v255 offset:49152
	ds_read_b128 v[85:88], v255 offset:53248
	s_waitcnt lgkmcnt(1)
	v_mul_f64 v[41:42], v[171:172], v[2:3]
	v_add_f64 v[39:40], v[6:7], -v[39:40]
	v_fma_f64 v[41:42], v[169:170], v[0:1], v[41:42]
	v_mul_f64 v[0:1], v[171:172], v[0:1]
	v_add_f64 v[41:42], v[21:22], -v[41:42]
	v_fma_f64 v[43:44], v[169:170], v[2:3], -v[0:1]
	ds_read_b128 v[0:3], v255 offset:40960
	ds_read_b128 v[137:140], v255 offset:45056
	s_waitcnt lgkmcnt(1)
	v_mul_f64 v[141:142], v[175:176], v[2:3]
	v_add_f64 v[43:44], v[23:24], -v[43:44]
	v_fma_f64 v[149:150], v[173:174], v[0:1], v[141:142]
	v_mul_f64 v[0:1], v[175:176], v[0:1]
	v_fma_f64 v[151:152], v[173:174], v[2:3], -v[0:1]
	ds_read_b128 v[0:3], v255 offset:57344
	ds_read_b128 v[141:144], v255 offset:61440
	s_waitcnt lgkmcnt(0)
	s_barrier
	buffer_gl0_inv
	v_mul_f64 v[153:154], v[179:180], v[2:3]
	v_fma_f64 v[153:154], v[177:178], v[0:1], v[153:154]
	v_mul_f64 v[0:1], v[179:180], v[0:1]
	v_fma_f64 v[0:1], v[177:178], v[2:3], -v[0:1]
	v_mul_f64 v[2:3], v[147:148], v[67:68]
	v_fma_f64 v[2:3], v[145:146], v[65:66], v[2:3]
	v_mul_f64 v[65:66], v[147:148], v[65:66]
	v_add_f64 v[147:148], v[29:30], -v[153:154]
	v_fma_f64 v[65:66], v[145:146], v[67:68], -v[65:66]
	v_mul_f64 v[67:68], v[159:160], v[87:88]
	v_add_f64 v[145:146], v[15:16], -v[151:152]
	v_add_f64 v[151:152], v[9:10], -v[2:3]
	v_fma_f64 v[2:3], v[23:24], 2.0, -v[43:44]
	v_add_f64 v[43:44], v[37:38], v[43:44]
	v_add_f64 v[153:154], v[11:12], -v[65:66]
	v_fma_f64 v[67:68], v[157:158], v[85:86], v[67:68]
	v_mul_f64 v[85:86], v[159:160], v[85:86]
	v_fma_f64 v[15:16], v[15:16], 2.0, -v[145:146]
	v_fma_f64 v[9:10], v[9:10], 2.0, -v[151:152]
	;; [unrolled: 1-line block ×3, first 2 shown]
	v_add_f64 v[65:66], v[25:26], -v[67:68]
	v_fma_f64 v[85:86], v[157:158], v[87:88], -v[85:86]
	v_mul_f64 v[87:88], v[135:136], v[139:140]
	v_mul_f64 v[135:136], v[135:136], v[137:138]
	v_add_f64 v[169:170], v[153:154], -v[65:66]
	v_add_f64 v[67:68], v[27:28], -v[85:86]
	v_fma_f64 v[87:88], v[133:134], v[137:138], v[87:88]
	v_mul_f64 v[137:138], v[183:184], v[143:144]
	v_fma_f64 v[133:134], v[133:134], v[139:140], -v[135:136]
	v_mul_f64 v[135:136], v[183:184], v[141:142]
	v_fma_f64 v[139:140], v[4:5], 2.0, -v[37:38]
	v_fma_f64 v[4:5], v[29:30], 2.0, -v[147:148]
	v_add_f64 v[147:148], v[145:146], -v[147:148]
	v_fma_f64 v[23:24], v[27:28], 2.0, -v[67:68]
	v_add_f64 v[155:156], v[17:18], -v[87:88]
	v_fma_f64 v[137:138], v[181:182], v[141:142], v[137:138]
	v_fma_f64 v[141:142], v[6:7], 2.0, -v[39:40]
	v_fma_f64 v[135:136], v[181:182], v[143:144], -v[135:136]
	v_add_f64 v[143:144], v[13:14], -v[149:150]
	v_add_f64 v[149:150], v[31:32], -v[0:1]
	;; [unrolled: 1-line block ×3, first 2 shown]
	v_fma_f64 v[0:1], v[21:22], 2.0, -v[41:42]
	v_fma_f64 v[21:22], v[25:26], 2.0, -v[65:66]
	v_add_f64 v[41:42], v[39:40], -v[41:42]
	v_add_f64 v[167:168], v[151:152], v[67:68]
	v_add_f64 v[23:24], v[11:12], -v[23:24]
	v_fma_f64 v[17:18], v[17:18], 2.0, -v[155:156]
	v_add_f64 v[87:88], v[33:34], -v[137:138]
	v_add_f64 v[85:86], v[35:36], -v[135:136]
	v_fma_f64 v[13:14], v[13:14], 2.0, -v[143:144]
	v_fma_f64 v[6:7], v[31:32], 2.0, -v[149:150]
	v_add_f64 v[149:150], v[143:144], v[149:150]
	v_fma_f64 v[19:20], v[19:20], 2.0, -v[157:158]
	v_add_f64 v[31:32], v[141:142], -v[2:3]
	v_add_f64 v[29:30], v[139:140], -v[0:1]
	;; [unrolled: 1-line block ×3, first 2 shown]
	v_fma_f64 v[11:12], v[11:12], 2.0, -v[23:24]
	v_fma_f64 v[27:28], v[33:34], 2.0, -v[87:88]
	v_add_f64 v[173:174], v[157:158], -v[87:88]
	v_fma_f64 v[25:26], v[35:36], 2.0, -v[85:86]
	v_add_f64 v[33:34], v[13:14], -v[4:5]
	v_add_f64 v[35:36], v[15:16], -v[6:7]
	v_fma_f64 v[65:66], v[149:150], s[8:9], v[43:44]
	v_add_f64 v[171:172], v[155:156], v[85:86]
	v_fma_f64 v[9:10], v[9:10], 2.0, -v[21:22]
	v_add_f64 v[27:28], v[17:18], -v[27:28]
	v_add_f64 v[25:26], v[19:20], -v[25:26]
	;; [unrolled: 1-line block ×3, first 2 shown]
	v_add_f64 v[159:160], v[29:30], v[35:36]
	v_fma_f64 v[175:176], v[147:148], s[8:9], v[65:66]
	v_fma_f64 v[65:66], v[147:148], s[8:9], v[41:42]
	v_fma_f64 v[15:16], v[15:16], 2.0, -v[35:36]
	v_fma_f64 v[35:36], v[145:146], 2.0, -v[147:148]
	;; [unrolled: 1-line block ×4, first 2 shown]
	v_add_f64 v[6:7], v[23:24], -v[27:28]
	v_fma_f64 v[17:18], v[17:18], 2.0, -v[27:28]
	v_add_f64 v[4:5], v[21:22], v[25:26]
	v_fma_f64 v[19:20], v[19:20], 2.0, -v[25:26]
	v_fma_f64 v[25:26], v[37:38], 2.0, -v[43:44]
	;; [unrolled: 1-line block ×3, first 2 shown]
	v_fma_f64 v[177:178], v[149:150], s[6:7], v[65:66]
	v_fma_f64 v[65:66], v[171:172], s[8:9], v[167:168]
	v_fma_f64 v[37:38], v[153:154], 2.0, -v[169:170]
	v_fma_f64 v[39:40], v[157:158], 2.0, -v[173:174]
	;; [unrolled: 1-line block ×7, first 2 shown]
	v_fma_f64 v[2:3], v[6:7], s[8:9], v[161:162]
	v_add_f64 v[17:18], v[9:10], -v[17:18]
	v_fma_f64 v[0:1], v[4:5], s[8:9], v[159:160]
	v_fma_f64 v[133:134], v[21:22], 2.0, -v[4:5]
	v_fma_f64 v[21:22], v[151:152], 2.0, -v[167:168]
	v_add_f64 v[19:20], v[11:12], -v[19:20]
	v_fma_f64 v[181:182], v[41:42], 2.0, -v[177:178]
	v_fma_f64 v[85:86], v[173:174], s[8:9], v[65:66]
	v_fma_f64 v[65:66], v[173:174], s[8:9], v[169:170]
	v_add_f64 v[13:14], v[29:30], -v[13:14]
	v_add_f64 v[15:16], v[31:32], -v[15:16]
	v_fma_f64 v[2:3], v[4:5], s[6:7], v[2:3]
	v_fma_f64 v[4:5], v[23:24], 2.0, -v[6:7]
	v_fma_f64 v[23:24], v[155:156], 2.0, -v[171:172]
	v_fma_f64 v[0:1], v[6:7], s[8:9], v[0:1]
	v_fma_f64 v[6:7], v[133:134], s[6:7], v[163:164]
	;; [unrolled: 1-line block ×6, first 2 shown]
	ds_write_b128 v203, v[0:3] offset:3584
	v_fma_f64 v[4:5], v[4:5], s[8:9], v[6:7]
	v_fma_f64 v[67:68], v[87:88], s[18:19], v[177:178]
	;; [unrolled: 1-line block ×6, first 2 shown]
	v_fma_f64 v[133:134], v[167:168], 2.0, -v[85:86]
	v_fma_f64 v[67:68], v[85:86], s[12:13], v[67:68]
	v_fma_f64 v[85:86], v[169:170], 2.0, -v[87:88]
	v_fma_f64 v[21:22], v[21:22], 2.0, -v[41:42]
	v_fma_f64 v[23:24], v[23:24], s[6:7], v[39:40]
	v_fma_f64 v[39:40], v[35:36], s[6:7], v[27:28]
	;; [unrolled: 1-line block ×3, first 2 shown]
	ds_write_b128 v203, v[65:68] offset:3840
	v_fma_f64 v[135:136], v[85:86], s[12:13], v[181:182]
	v_fma_f64 v[39:40], v[33:34], s[6:7], v[39:40]
	;; [unrolled: 1-line block ×5, first 2 shown]
	v_add_f64 v[133:134], v[13:14], v[19:20]
	v_add_f64 v[135:136], v[15:16], -v[17:18]
	v_fma_f64 v[27:28], v[27:28], 2.0, -v[39:40]
	v_fma_f64 v[33:34], v[35:36], s[8:9], v[33:34]
	v_fma_f64 v[35:36], v[23:24], s[16:17], v[39:40]
	v_fma_f64 v[137:138], v[13:14], 2.0, -v[133:134]
	v_fma_f64 v[139:140], v[15:16], 2.0, -v[135:136]
	ds_write_b128 v203, v[133:136] offset:3072
	v_fma_f64 v[133:134], v[159:160], 2.0, -v[0:1]
	v_fma_f64 v[135:136], v[161:162], 2.0, -v[2:3]
	;; [unrolled: 1-line block ×4, first 2 shown]
	ds_write_b128 v203, v[137:140] offset:1024
	ds_write_b128 v203, v[133:136] offset:1536
	ds_write_b128 v203, v[0:3] offset:1792
	v_fma_f64 v[43:44], v[41:42], s[16:17], v[33:34]
	v_fma_f64 v[25:26], v[25:26], 2.0, -v[33:34]
	v_fma_f64 v[13:14], v[29:30], 2.0, -v[13:14]
	v_fma_f64 v[15:16], v[31:32], 2.0, -v[15:16]
	v_fma_f64 v[0:1], v[9:10], 2.0, -v[17:18]
	v_fma_f64 v[2:3], v[11:12], 2.0, -v[19:20]
	v_fma_f64 v[67:68], v[41:42], s[14:15], v[35:36]
	ds_write_b128 v203, v[4:7] offset:2560
	ds_write_b128 v203, v[85:88] offset:2816
	v_fma_f64 v[65:66], v[23:24], s[18:19], v[43:44]
	v_fma_f64 v[23:24], v[37:38], 2.0, -v[23:24]
	v_fma_f64 v[35:36], v[21:22], s[14:15], v[25:26]
	v_add_f64 v[0:1], v[13:14], -v[0:1]
	v_add_f64 v[2:3], v[15:16], -v[2:3]
	v_fma_f64 v[37:38], v[23:24], s[14:15], v[27:28]
	v_fma_f64 v[141:142], v[23:24], s[16:17], v[35:36]
	v_fma_f64 v[133:134], v[13:14], 2.0, -v[0:1]
	v_fma_f64 v[135:136], v[15:16], 2.0, -v[2:3]
	ds_write_b128 v203, v[0:3] offset:2048
	v_fma_f64 v[0:1], v[163:164], 2.0, -v[4:5]
	v_fma_f64 v[2:3], v[165:166], 2.0, -v[6:7]
	;; [unrolled: 1-line block ×6, first 2 shown]
	ds_write_b128 v203, v[65:68] offset:3328
	ds_write_b128 v203, v[133:136]
	ds_write_b128 v203, v[0:3] offset:512
	ds_write_b128 v203, v[4:7] offset:768
	;; [unrolled: 1-line block ×3, first 2 shown]
	v_fma_f64 v[143:144], v[21:22], s[12:13], v[37:38]
	v_fma_f64 v[0:1], v[25:26], 2.0, -v[141:142]
	v_fma_f64 v[2:3], v[27:28], 2.0, -v[143:144]
	ds_write_b128 v203, v[141:144] offset:2304
	ds_write_b128 v203, v[0:3] offset:256
	s_waitcnt lgkmcnt(0)
	s_barrier
	buffer_gl0_inv
	ds_read_b128 v[65:68], v255 offset:4096
	ds_read_b128 v[0:3], v255
	s_waitcnt lgkmcnt(1)
	v_mul_f64 v[4:5], v[71:72], v[67:68]
	v_fma_f64 v[9:10], v[69:70], v[65:66], v[4:5]
	v_mul_f64 v[4:5], v[71:72], v[65:66]
	v_fma_f64 v[11:12], v[69:70], v[67:68], -v[4:5]
	ds_read_b128 v[4:7], v255 offset:8192
	ds_read_b128 v[65:68], v255 offset:12288
	s_waitcnt lgkmcnt(1)
	v_mul_f64 v[13:14], v[99:100], v[6:7]
	v_fma_f64 v[13:14], v[97:98], v[4:5], v[13:14]
	v_mul_f64 v[4:5], v[99:100], v[4:5]
	v_fma_f64 v[15:16], v[97:98], v[6:7], -v[4:5]
	s_waitcnt lgkmcnt(0)
	v_mul_f64 v[4:5], v[95:96], v[67:68]
	v_fma_f64 v[17:18], v[93:94], v[65:66], v[4:5]
	v_mul_f64 v[4:5], v[95:96], v[65:66]
	v_fma_f64 v[19:20], v[93:94], v[67:68], -v[4:5]
	ds_read_b128 v[4:7], v255 offset:16384
	ds_read_b128 v[65:68], v255 offset:20480
	s_waitcnt lgkmcnt(1)
	v_mul_f64 v[21:22], v[75:76], v[6:7]
	v_fma_f64 v[21:22], v[73:74], v[4:5], v[21:22]
	v_mul_f64 v[4:5], v[75:76], v[4:5]
	v_fma_f64 v[23:24], v[73:74], v[6:7], -v[4:5]
	;; [unrolled: 12-line block ×4, first 2 shown]
	ds_read_b128 v[4:7], v255 offset:49152
	ds_read_b128 v[69:72], v255 offset:53248
	s_waitcnt lgkmcnt(1)
	v_mul_f64 v[41:42], v[131:132], v[6:7]
	v_fma_f64 v[41:42], v[129:130], v[4:5], v[41:42]
	v_mul_f64 v[4:5], v[131:132], v[4:5]
	v_add_f64 v[41:42], v[21:22], -v[41:42]
	v_fma_f64 v[43:44], v[129:130], v[6:7], -v[4:5]
	ds_read_b128 v[4:7], v255 offset:40960
	ds_read_b128 v[73:76], v255 offset:45056
	s_waitcnt lgkmcnt(1)
	v_mul_f64 v[85:86], v[119:120], v[6:7]
	v_add_f64 v[43:44], v[23:24], -v[43:44]
	v_fma_f64 v[93:94], v[117:118], v[4:5], v[85:86]
	v_mul_f64 v[4:5], v[119:120], v[4:5]
	v_fma_f64 v[95:96], v[117:118], v[6:7], -v[4:5]
	ds_read_b128 v[4:7], v255 offset:57344
	ds_read_b128 v[85:88], v255 offset:61440
	s_waitcnt lgkmcnt(1)
	v_mul_f64 v[97:98], v[123:124], v[6:7]
	v_fma_f64 v[97:98], v[121:122], v[4:5], v[97:98]
	v_mul_f64 v[4:5], v[123:124], v[4:5]
	v_fma_f64 v[4:5], v[121:122], v[6:7], -v[4:5]
	v_mul_f64 v[6:7], v[79:80], v[67:68]
	v_fma_f64 v[6:7], v[77:78], v[65:66], v[6:7]
	v_mul_f64 v[65:66], v[79:80], v[65:66]
	v_fma_f64 v[77:78], v[77:78], v[67:68], -v[65:66]
	v_mul_f64 v[65:66], v[83:84], v[71:72]
	v_add_f64 v[67:68], v[2:3], -v[39:40]
	v_fma_f64 v[79:80], v[81:82], v[69:70], v[65:66]
	v_mul_f64 v[65:66], v[83:84], v[69:70]
	v_add_f64 v[83:84], v[29:30], -v[97:98]
	v_fma_f64 v[39:40], v[2:3], 2.0, -v[67:68]
	v_fma_f64 v[2:3], v[23:24], 2.0, -v[43:44]
	v_fma_f64 v[69:70], v[81:82], v[71:72], -v[65:66]
	v_mul_f64 v[65:66], v[91:92], v[75:76]
	v_add_f64 v[69:70], v[27:28], -v[69:70]
	v_fma_f64 v[71:72], v[89:90], v[73:74], v[65:66]
	v_mul_f64 v[65:66], v[91:92], v[73:74]
	v_add_f64 v[91:92], v[9:10], -v[6:7]
	v_fma_f64 v[23:24], v[27:28], 2.0, -v[69:70]
	v_fma_f64 v[73:74], v[89:90], v[75:76], -v[65:66]
	s_waitcnt lgkmcnt(0)
	v_mul_f64 v[65:66], v[127:128], v[85:86]
	v_add_f64 v[89:90], v[31:32], -v[4:5]
	v_fma_f64 v[4:5], v[29:30], 2.0, -v[83:84]
	v_fma_f64 v[9:10], v[9:10], 2.0, -v[91:92]
	v_add_f64 v[109:110], v[91:92], v[69:70]
	v_add_f64 v[97:98], v[19:20], -v[73:74]
	v_fma_f64 v[75:76], v[125:126], v[87:88], -v[65:66]
	v_mul_f64 v[65:66], v[127:128], v[87:88]
	v_add_f64 v[87:88], v[15:16], -v[95:96]
	v_add_f64 v[95:96], v[17:18], -v[71:72]
	v_fma_f64 v[6:7], v[31:32], 2.0, -v[89:90]
	v_add_f64 v[31:32], v[39:40], -v[2:3]
	v_fma_f64 v[19:20], v[19:20], 2.0, -v[97:98]
	v_add_f64 v[71:72], v[35:36], -v[75:76]
	v_fma_f64 v[81:82], v[125:126], v[85:86], v[65:66]
	v_add_f64 v[85:86], v[13:14], -v[93:94]
	v_add_f64 v[93:94], v[11:12], -v[77:78]
	;; [unrolled: 1-line block ×4, first 2 shown]
	v_fma_f64 v[17:18], v[17:18], 2.0, -v[95:96]
	v_fma_f64 v[15:16], v[15:16], 2.0, -v[87:88]
	v_add_f64 v[107:108], v[87:88], -v[83:84]
	v_add_f64 v[113:114], v[95:96], v[71:72]
	v_add_f64 v[73:74], v[33:34], -v[81:82]
	v_fma_f64 v[13:14], v[13:14], 2.0, -v[85:86]
	v_fma_f64 v[11:12], v[11:12], 2.0, -v[93:94]
	;; [unrolled: 1-line block ×6, first 2 shown]
	v_add_f64 v[43:44], v[65:66], v[43:44]
	v_add_f64 v[89:90], v[85:86], v[89:90]
	v_add_f64 v[35:36], v[15:16], -v[6:7]
	v_add_f64 v[41:42], v[67:68], -v[41:42]
	;; [unrolled: 1-line block ×3, first 2 shown]
	v_fma_f64 v[27:28], v[33:34], 2.0, -v[73:74]
	v_add_f64 v[33:34], v[13:14], -v[4:5]
	v_add_f64 v[23:24], v[11:12], -v[23:24]
	;; [unrolled: 1-line block ×6, first 2 shown]
	v_fma_f64 v[69:70], v[89:90], s[8:9], v[43:44]
	v_fma_f64 v[15:16], v[15:16], 2.0, -v[35:36]
	v_add_f64 v[27:28], v[17:18], -v[27:28]
	v_add_f64 v[101:102], v[31:32], -v[33:34]
	v_fma_f64 v[11:12], v[11:12], 2.0, -v[23:24]
	v_fma_f64 v[13:14], v[13:14], 2.0, -v[33:34]
	v_add_f64 v[99:100], v[29:30], v[35:36]
	v_fma_f64 v[9:10], v[9:10], 2.0, -v[21:22]
	v_add_f64 v[4:5], v[21:22], v[25:26]
	v_fma_f64 v[35:36], v[87:88], 2.0, -v[107:108]
	v_fma_f64 v[117:118], v[107:108], s[8:9], v[69:70]
	v_fma_f64 v[69:70], v[107:108], s[8:9], v[41:42]
	v_fma_f64 v[19:20], v[19:20], 2.0, -v[25:26]
	v_fma_f64 v[25:26], v[65:66], 2.0, -v[43:44]
	;; [unrolled: 1-line block ×3, first 2 shown]
	v_add_f64 v[6:7], v[23:24], -v[27:28]
	v_fma_f64 v[105:106], v[31:32], 2.0, -v[101:102]
	v_fma_f64 v[31:32], v[39:40], 2.0, -v[31:32]
	;; [unrolled: 1-line block ×5, first 2 shown]
	v_fma_f64 v[0:1], v[4:5], s[8:9], v[99:100]
	v_fma_f64 v[75:76], v[21:22], 2.0, -v[4:5]
	v_fma_f64 v[21:22], v[91:92], 2.0, -v[109:110]
	v_fma_f64 v[119:120], v[89:90], s[6:7], v[69:70]
	v_fma_f64 v[69:70], v[113:114], s[8:9], v[109:110]
	v_fma_f64 v[27:28], v[67:68], 2.0, -v[41:42]
	v_fma_f64 v[37:38], v[93:94], 2.0, -v[111:112]
	;; [unrolled: 1-line block ×4, first 2 shown]
	v_add_f64 v[19:20], v[11:12], -v[19:20]
	v_fma_f64 v[2:3], v[6:7], s[8:9], v[101:102]
	v_add_f64 v[15:16], v[31:32], -v[15:16]
	v_add_f64 v[17:18], v[9:10], -v[17:18]
	;; [unrolled: 1-line block ×3, first 2 shown]
	v_fma_f64 v[0:1], v[6:7], s[8:9], v[0:1]
	v_fma_f64 v[123:124], v[41:42], 2.0, -v[119:120]
	v_fma_f64 v[73:74], v[115:116], s[8:9], v[69:70]
	v_fma_f64 v[69:70], v[115:116], s[8:9], v[111:112]
	;; [unrolled: 1-line block ×3, first 2 shown]
	v_fma_f64 v[4:5], v[23:24], 2.0, -v[6:7]
	v_fma_f64 v[23:24], v[95:96], 2.0, -v[113:114]
	v_fma_f64 v[6:7], v[75:76], s[6:7], v[103:104]
	v_fma_f64 v[77:78], v[109:110], 2.0, -v[73:74]
	ds_write_b128 v255, v[0:3] offset:57344
	v_fma_f64 v[79:80], v[4:5], s[6:7], v[105:106]
	v_fma_f64 v[41:42], v[23:24], s[6:7], v[21:22]
	;; [unrolled: 1-line block ×9, first 2 shown]
	v_fma_f64 v[21:22], v[21:22], 2.0, -v[41:42]
	v_fma_f64 v[23:24], v[23:24], s[6:7], v[39:40]
	v_fma_f64 v[39:40], v[35:36], s[6:7], v[27:28]
	;; [unrolled: 1-line block ×4, first 2 shown]
	v_fma_f64 v[73:74], v[111:112], 2.0, -v[75:76]
	v_fma_f64 v[75:76], v[77:78], s[12:13], v[121:122]
	v_fma_f64 v[39:40], v[33:34], s[6:7], v[39:40]
	;; [unrolled: 1-line block ×3, first 2 shown]
	ds_write_b128 v255, v[69:72] offset:61440
	v_fma_f64 v[79:80], v[73:74], s[12:13], v[123:124]
	v_fma_f64 v[73:74], v[73:74], s[18:19], v[75:76]
	v_fma_f64 v[27:28], v[27:28], 2.0, -v[39:40]
	v_fma_f64 v[33:34], v[35:36], s[8:9], v[33:34]
	v_fma_f64 v[35:36], v[23:24], s[16:17], v[39:40]
	;; [unrolled: 1-line block ×3, first 2 shown]
	v_add_f64 v[77:78], v[13:14], v[19:20]
	v_add_f64 v[79:80], v[15:16], -v[17:18]
	v_fma_f64 v[43:44], v[41:42], s[16:17], v[33:34]
	v_fma_f64 v[25:26], v[25:26], 2.0, -v[33:34]
	v_fma_f64 v[67:68], v[41:42], s[14:15], v[35:36]
	v_fma_f64 v[81:82], v[13:14], 2.0, -v[77:78]
	v_fma_f64 v[83:84], v[15:16], 2.0, -v[79:80]
	ds_write_b128 v255, v[77:80] offset:49152
	v_fma_f64 v[77:78], v[99:100], 2.0, -v[0:1]
	v_fma_f64 v[79:80], v[101:102], 2.0, -v[2:3]
	;; [unrolled: 1-line block ×4, first 2 shown]
	v_fma_f64 v[65:66], v[23:24], s[18:19], v[43:44]
	v_fma_f64 v[23:24], v[37:38], 2.0, -v[23:24]
	ds_write_b128 v255, v[81:84] offset:16384
	ds_write_b128 v255, v[77:80] offset:24576
	;; [unrolled: 1-line block ×3, first 2 shown]
	v_fma_f64 v[13:14], v[29:30], 2.0, -v[13:14]
	v_fma_f64 v[15:16], v[31:32], 2.0, -v[15:16]
	;; [unrolled: 1-line block ×4, first 2 shown]
	v_fma_f64 v[35:36], v[21:22], s[14:15], v[25:26]
	v_fma_f64 v[37:38], v[23:24], s[14:15], v[27:28]
	ds_write_b128 v255, v[4:7] offset:40960
	ds_write_b128 v255, v[73:76] offset:45056
	v_add_f64 v[0:1], v[13:14], -v[0:1]
	v_add_f64 v[2:3], v[15:16], -v[2:3]
	v_fma_f64 v[69:70], v[23:24], s[16:17], v[35:36]
	v_fma_f64 v[71:72], v[21:22], s[12:13], v[37:38]
	v_fma_f64 v[77:78], v[13:14], 2.0, -v[0:1]
	v_fma_f64 v[79:80], v[15:16], 2.0, -v[2:3]
	ds_write_b128 v255, v[0:3] offset:32768
	v_fma_f64 v[0:1], v[103:104], 2.0, -v[4:5]
	v_fma_f64 v[2:3], v[105:106], 2.0, -v[6:7]
	;; [unrolled: 1-line block ×6, first 2 shown]
	ds_write_b128 v255, v[65:68] offset:53248
	ds_write_b128 v255, v[77:80]
	ds_write_b128 v255, v[0:3] offset:8192
	ds_write_b128 v255, v[4:7] offset:12288
	ds_write_b128 v255, v[73:76] offset:20480
	v_fma_f64 v[0:1], v[25:26], 2.0, -v[69:70]
	v_fma_f64 v[2:3], v[27:28], 2.0, -v[71:72]
	ds_write_b128 v255, v[69:72] offset:36864
	ds_write_b128 v255, v[0:3] offset:4096
	s_waitcnt lgkmcnt(0)
	s_barrier
	buffer_gl0_inv
	ds_read_b128 v[0:3], v255
	ds_read_b128 v[4:7], v255 offset:4096
	s_clause 0x7
	buffer_load_dword v11, off, s[24:27], 0 offset:144
	buffer_load_dword v12, off, s[24:27], 0 offset:148
	buffer_load_dword v13, off, s[24:27], 0 offset:152
	buffer_load_dword v14, off, s[24:27], 0 offset:156
	buffer_load_dword v15, off, s[24:27], 0 offset:160
	buffer_load_dword v16, off, s[24:27], 0 offset:164
	buffer_load_dword v17, off, s[24:27], 0 offset:168
	buffer_load_dword v18, off, s[24:27], 0 offset:172
	s_waitcnt vmcnt(4) lgkmcnt(1)
	v_mul_f64 v[9:10], v[13:14], v[2:3]
	v_fma_f64 v[9:10], v[11:12], v[0:1], v[9:10]
	v_mul_f64 v[0:1], v[13:14], v[0:1]
	v_fma_f64 v[11:12], v[11:12], v[2:3], -v[0:1]
	s_waitcnt vmcnt(0) lgkmcnt(0)
	v_mul_f64 v[0:1], v[17:18], v[6:7]
	v_mul_f64 v[2:3], v[17:18], v[4:5]
	v_fma_f64 v[13:14], v[15:16], v[4:5], v[0:1]
	v_fma_f64 v[15:16], v[15:16], v[6:7], -v[2:3]
	ds_read_b128 v[0:3], v255 offset:8192
	ds_read_b128 v[4:7], v255 offset:12288
	s_clause 0x7
	buffer_load_dword v19, off, s[24:27], 0 offset:128
	buffer_load_dword v20, off, s[24:27], 0 offset:132
	buffer_load_dword v21, off, s[24:27], 0 offset:136
	buffer_load_dword v22, off, s[24:27], 0 offset:140
	buffer_load_dword v23, off, s[24:27], 0 offset:112
	buffer_load_dword v24, off, s[24:27], 0 offset:116
	buffer_load_dword v25, off, s[24:27], 0 offset:120
	buffer_load_dword v26, off, s[24:27], 0 offset:124
	s_waitcnt vmcnt(4) lgkmcnt(1)
	v_mul_f64 v[17:18], v[21:22], v[2:3]
	v_fma_f64 v[17:18], v[19:20], v[0:1], v[17:18]
	v_mul_f64 v[0:1], v[21:22], v[0:1]
	v_fma_f64 v[19:20], v[19:20], v[2:3], -v[0:1]
	s_waitcnt vmcnt(0) lgkmcnt(0)
	v_mul_f64 v[0:1], v[25:26], v[6:7]
	v_mul_f64 v[2:3], v[25:26], v[4:5]
	v_fma_f64 v[21:22], v[23:24], v[4:5], v[0:1]
	v_fma_f64 v[23:24], v[23:24], v[6:7], -v[2:3]
	ds_read_b128 v[0:3], v255 offset:16384
	;; [unrolled: 21-line block ×4, first 2 shown]
	ds_read_b128 v[4:7], v255 offset:36864
	s_clause 0x3
	buffer_load_dword v65, off, s[24:27], 0 offset:32
	buffer_load_dword v66, off, s[24:27], 0 offset:36
	;; [unrolled: 1-line block ×4, first 2 shown]
	s_waitcnt vmcnt(0) lgkmcnt(1)
	v_mul_f64 v[41:42], v[67:68], v[2:3]
	v_fma_f64 v[41:42], v[65:66], v[0:1], v[41:42]
	v_mul_f64 v[0:1], v[67:68], v[0:1]
	v_fma_f64 v[43:44], v[65:66], v[2:3], -v[0:1]
	s_waitcnt lgkmcnt(0)
	v_mul_f64 v[0:1], v[47:48], v[6:7]
	v_mul_f64 v[2:3], v[47:48], v[4:5]
	v_fma_f64 v[47:48], v[45:46], v[4:5], v[0:1]
	v_fma_f64 v[45:46], v[45:46], v[6:7], -v[2:3]
	ds_read_b128 v[0:3], v255 offset:40960
	ds_read_b128 v[4:7], v255 offset:45056
	s_clause 0x3
	buffer_load_dword v67, off, s[24:27], 0 offset:96
	buffer_load_dword v68, off, s[24:27], 0 offset:100
	;; [unrolled: 1-line block ×4, first 2 shown]
	s_waitcnt vmcnt(0) lgkmcnt(1)
	v_mul_f64 v[65:66], v[69:70], v[2:3]
	v_fma_f64 v[65:66], v[67:68], v[0:1], v[65:66]
	v_mul_f64 v[0:1], v[69:70], v[0:1]
	v_fma_f64 v[67:68], v[67:68], v[2:3], -v[0:1]
	s_waitcnt lgkmcnt(0)
	v_mul_f64 v[0:1], v[55:56], v[6:7]
	v_mul_f64 v[2:3], v[55:56], v[4:5]
	v_fma_f64 v[55:56], v[53:54], v[4:5], v[0:1]
	v_fma_f64 v[53:54], v[53:54], v[6:7], -v[2:3]
	ds_read_b128 v[0:3], v255 offset:49152
	ds_read_b128 v[4:7], v255 offset:53248
	s_waitcnt lgkmcnt(1)
	v_mul_f64 v[69:70], v[51:52], v[2:3]
	v_fma_f64 v[69:70], v[49:50], v[0:1], v[69:70]
	v_mul_f64 v[0:1], v[51:52], v[0:1]
	v_fma_f64 v[49:50], v[49:50], v[2:3], -v[0:1]
	s_waitcnt lgkmcnt(0)
	v_mul_f64 v[0:1], v[63:64], v[6:7]
	v_mul_f64 v[2:3], v[63:64], v[4:5]
	v_fma_f64 v[51:52], v[61:62], v[4:5], v[0:1]
	v_fma_f64 v[61:62], v[61:62], v[6:7], -v[2:3]
	ds_read_b128 v[0:3], v255 offset:57344
	ds_read_b128 v[4:7], v255 offset:61440
	s_clause 0x3
	buffer_load_dword v71, off, s[24:27], 0
	buffer_load_dword v72, off, s[24:27], 0 offset:4
	buffer_load_dword v73, off, s[24:27], 0 offset:8
	;; [unrolled: 1-line block ×3, first 2 shown]
	s_waitcnt lgkmcnt(1)
	v_mul_f64 v[63:64], v[59:60], v[2:3]
	v_fma_f64 v[63:64], v[57:58], v[0:1], v[63:64]
	v_mul_f64 v[0:1], v[59:60], v[0:1]
	v_fma_f64 v[57:58], v[57:58], v[2:3], -v[0:1]
	v_mad_u64_u32 v[0:1], null, s2, v254, 0
	v_mad_u64_u32 v[1:2], null, s3, v254, v[1:2]
	;; [unrolled: 1-line block ×3, first 2 shown]
	s_load_dwordx2 s[2:3], s[4:5], 0x38
	v_lshlrev_b64 v[0:1], 4, v[0:1]
	s_waitcnt lgkmcnt(0)
	v_mad_u64_u32 v[59:60], null, s1, v197, v[3:4]
	s_lshl_b64 s[0:1], s[0:1], 12
	v_mov_b32_e32 v3, v59
	v_lshlrev_b64 v[2:3], 4, v[2:3]
	v_add_co_u32 v0, vcc_lo, s2, v0
	v_add_co_ci_u32_e32 v1, vcc_lo, s3, v1, vcc_lo
	v_add_co_u32 v59, vcc_lo, v0, v2
	v_add_co_ci_u32_e32 v60, vcc_lo, v1, v3, vcc_lo
	s_waitcnt vmcnt(0)
	v_mul_f64 v[0:1], v[73:74], v[6:7]
	v_mul_f64 v[2:3], v[73:74], v[4:5]
	v_mov_b32_e32 v76, v72
	v_mov_b32_e32 v75, v71
	v_add_co_u32 v71, vcc_lo, v59, s0
	v_add_co_ci_u32_e32 v72, vcc_lo, s1, v60, vcc_lo
	v_add_co_u32 v8, vcc_lo, v71, s0
	v_fma_f64 v[73:74], v[75:76], v[4:5], v[0:1]
	v_fma_f64 v[75:76], v[75:76], v[6:7], -v[2:3]
	v_ldexp_f64 v[0:1], v[9:10], -12
	v_ldexp_f64 v[2:3], v[11:12], -12
	v_add_co_ci_u32_e32 v9, vcc_lo, s1, v72, vcc_lo
	v_add_co_u32 v77, vcc_lo, v8, s0
	v_ldexp_f64 v[4:5], v[13:14], -12
	v_add_co_ci_u32_e32 v78, vcc_lo, s1, v9, vcc_lo
	v_add_co_u32 v79, vcc_lo, v77, s0
	;; [unrolled: 3-line block ×3, first 2 shown]
	v_ldexp_f64 v[10:11], v[31:32], -12
	v_add_co_ci_u32_e32 v82, vcc_lo, s1, v80, vcc_lo
	v_ldexp_f64 v[12:13], v[33:34], -12
	v_ldexp_f64 v[14:15], v[35:36], -12
	;; [unrolled: 1-line block ×4, first 2 shown]
	global_store_dwordx4 v[59:60], v[0:3], off
	v_add_co_u32 v59, vcc_lo, v81, s0
	v_ldexp_f64 v[0:1], v[17:18], -12
	v_ldexp_f64 v[2:3], v[19:20], -12
	v_add_co_ci_u32_e32 v60, vcc_lo, s1, v82, vcc_lo
	v_add_co_u32 v83, vcc_lo, v59, s0
	v_ldexp_f64 v[16:17], v[37:38], -12
	v_add_co_ci_u32_e32 v84, vcc_lo, s1, v60, vcc_lo
	v_add_co_u32 v85, vcc_lo, v83, s0
	global_store_dwordx4 v[71:72], v[4:7], off
	v_add_co_ci_u32_e32 v86, vcc_lo, s1, v84, vcc_lo
	v_add_co_u32 v71, vcc_lo, v85, s0
	v_ldexp_f64 v[4:5], v[25:26], -12
	v_add_co_ci_u32_e32 v72, vcc_lo, s1, v86, vcc_lo
	v_add_co_u32 v87, vcc_lo, v71, s0
	v_ldexp_f64 v[6:7], v[27:28], -12
	v_add_co_ci_u32_e32 v88, vcc_lo, s1, v72, vcc_lo
	global_store_dwordx4 v[8:9], v[0:3], off
	v_ldexp_f64 v[0:1], v[21:22], -12
	v_ldexp_f64 v[2:3], v[23:24], -12
	v_add_co_u32 v89, vcc_lo, v87, s0
	v_ldexp_f64 v[8:9], v[29:30], -12
	v_add_co_ci_u32_e32 v90, vcc_lo, s1, v88, vcc_lo
	v_ldexp_f64 v[18:19], v[39:40], -12
	v_ldexp_f64 v[20:21], v[41:42], -12
	;; [unrolled: 1-line block ×3, first 2 shown]
	v_add_co_u32 v91, vcc_lo, v89, s0
	v_ldexp_f64 v[24:25], v[47:48], -12
	v_ldexp_f64 v[26:27], v[45:46], -12
	;; [unrolled: 1-line block ×4, first 2 shown]
	v_add_co_ci_u32_e32 v92, vcc_lo, s1, v90, vcc_lo
	v_ldexp_f64 v[36:37], v[69:70], -12
	v_ldexp_f64 v[38:39], v[49:50], -12
	;; [unrolled: 1-line block ×6, first 2 shown]
	v_add_co_u32 v52, vcc_lo, v91, s0
	v_ldexp_f64 v[48:49], v[73:74], -12
	v_ldexp_f64 v[50:51], v[75:76], -12
	v_add_co_ci_u32_e32 v53, vcc_lo, s1, v92, vcc_lo
	v_add_co_u32 v54, vcc_lo, v52, s0
	global_store_dwordx4 v[77:78], v[0:3], off
	v_add_co_ci_u32_e32 v55, vcc_lo, s1, v53, vcc_lo
	v_add_co_u32 v0, vcc_lo, v54, s0
	v_add_co_ci_u32_e32 v1, vcc_lo, s1, v55, vcc_lo
	global_store_dwordx4 v[79:80], v[4:7], off
	global_store_dwordx4 v[81:82], v[8:11], off
	;; [unrolled: 1-line block ×12, first 2 shown]
.LBB0_2:
	s_endpgm
	.section	.rodata,"a",@progbits
	.p2align	6, 0x0
	.amdhsa_kernel bluestein_single_back_len4096_dim1_dp_op_CI_CI
		.amdhsa_group_segment_fixed_size 65536
		.amdhsa_private_segment_fixed_size 180
		.amdhsa_kernarg_size 104
		.amdhsa_user_sgpr_count 6
		.amdhsa_user_sgpr_private_segment_buffer 1
		.amdhsa_user_sgpr_dispatch_ptr 0
		.amdhsa_user_sgpr_queue_ptr 0
		.amdhsa_user_sgpr_kernarg_segment_ptr 1
		.amdhsa_user_sgpr_dispatch_id 0
		.amdhsa_user_sgpr_flat_scratch_init 0
		.amdhsa_user_sgpr_private_segment_size 0
		.amdhsa_wavefront_size32 1
		.amdhsa_uses_dynamic_stack 0
		.amdhsa_system_sgpr_private_segment_wavefront_offset 1
		.amdhsa_system_sgpr_workgroup_id_x 1
		.amdhsa_system_sgpr_workgroup_id_y 0
		.amdhsa_system_sgpr_workgroup_id_z 0
		.amdhsa_system_sgpr_workgroup_info 0
		.amdhsa_system_vgpr_workitem_id 0
		.amdhsa_next_free_vgpr 256
		.amdhsa_next_free_sgpr 28
		.amdhsa_reserve_vcc 1
		.amdhsa_reserve_flat_scratch 0
		.amdhsa_float_round_mode_32 0
		.amdhsa_float_round_mode_16_64 0
		.amdhsa_float_denorm_mode_32 3
		.amdhsa_float_denorm_mode_16_64 3
		.amdhsa_dx10_clamp 1
		.amdhsa_ieee_mode 1
		.amdhsa_fp16_overflow 0
		.amdhsa_workgroup_processor_mode 1
		.amdhsa_memory_ordered 1
		.amdhsa_forward_progress 0
		.amdhsa_shared_vgpr_count 0
		.amdhsa_exception_fp_ieee_invalid_op 0
		.amdhsa_exception_fp_denorm_src 0
		.amdhsa_exception_fp_ieee_div_zero 0
		.amdhsa_exception_fp_ieee_overflow 0
		.amdhsa_exception_fp_ieee_underflow 0
		.amdhsa_exception_fp_ieee_inexact 0
		.amdhsa_exception_int_div_zero 0
	.end_amdhsa_kernel
	.text
.Lfunc_end0:
	.size	bluestein_single_back_len4096_dim1_dp_op_CI_CI, .Lfunc_end0-bluestein_single_back_len4096_dim1_dp_op_CI_CI
                                        ; -- End function
	.section	.AMDGPU.csdata,"",@progbits
; Kernel info:
; codeLenInByte = 16080
; NumSgprs: 30
; NumVgprs: 256
; ScratchSize: 180
; MemoryBound: 0
; FloatMode: 240
; IeeeMode: 1
; LDSByteSize: 65536 bytes/workgroup (compile time only)
; SGPRBlocks: 3
; VGPRBlocks: 31
; NumSGPRsForWavesPerEU: 30
; NumVGPRsForWavesPerEU: 256
; Occupancy: 4
; WaveLimiterHint : 1
; COMPUTE_PGM_RSRC2:SCRATCH_EN: 1
; COMPUTE_PGM_RSRC2:USER_SGPR: 6
; COMPUTE_PGM_RSRC2:TRAP_HANDLER: 0
; COMPUTE_PGM_RSRC2:TGID_X_EN: 1
; COMPUTE_PGM_RSRC2:TGID_Y_EN: 0
; COMPUTE_PGM_RSRC2:TGID_Z_EN: 0
; COMPUTE_PGM_RSRC2:TIDIG_COMP_CNT: 0
	.text
	.p2alignl 6, 3214868480
	.fill 48, 4, 3214868480
	.type	__hip_cuid_8127c8d536a4c0c1,@object ; @__hip_cuid_8127c8d536a4c0c1
	.section	.bss,"aw",@nobits
	.globl	__hip_cuid_8127c8d536a4c0c1
__hip_cuid_8127c8d536a4c0c1:
	.byte	0                               ; 0x0
	.size	__hip_cuid_8127c8d536a4c0c1, 1

	.ident	"AMD clang version 19.0.0git (https://github.com/RadeonOpenCompute/llvm-project roc-6.4.0 25133 c7fe45cf4b819c5991fe208aaa96edf142730f1d)"
	.section	".note.GNU-stack","",@progbits
	.addrsig
	.addrsig_sym __hip_cuid_8127c8d536a4c0c1
	.amdgpu_metadata
---
amdhsa.kernels:
  - .args:
      - .actual_access:  read_only
        .address_space:  global
        .offset:         0
        .size:           8
        .value_kind:     global_buffer
      - .actual_access:  read_only
        .address_space:  global
        .offset:         8
        .size:           8
        .value_kind:     global_buffer
      - .actual_access:  read_only
        .address_space:  global
        .offset:         16
        .size:           8
        .value_kind:     global_buffer
      - .actual_access:  read_only
        .address_space:  global
        .offset:         24
        .size:           8
        .value_kind:     global_buffer
      - .actual_access:  read_only
        .address_space:  global
        .offset:         32
        .size:           8
        .value_kind:     global_buffer
      - .offset:         40
        .size:           8
        .value_kind:     by_value
      - .address_space:  global
        .offset:         48
        .size:           8
        .value_kind:     global_buffer
      - .address_space:  global
        .offset:         56
        .size:           8
        .value_kind:     global_buffer
      - .address_space:  global
        .offset:         64
        .size:           8
        .value_kind:     global_buffer
      - .address_space:  global
        .offset:         72
        .size:           8
        .value_kind:     global_buffer
      - .offset:         80
        .size:           4
        .value_kind:     by_value
      - .address_space:  global
        .offset:         88
        .size:           8
        .value_kind:     global_buffer
      - .address_space:  global
        .offset:         96
        .size:           8
        .value_kind:     global_buffer
    .group_segment_fixed_size: 65536
    .kernarg_segment_align: 8
    .kernarg_segment_size: 104
    .language:       OpenCL C
    .language_version:
      - 2
      - 0
    .max_flat_workgroup_size: 256
    .name:           bluestein_single_back_len4096_dim1_dp_op_CI_CI
    .private_segment_fixed_size: 180
    .sgpr_count:     30
    .sgpr_spill_count: 0
    .symbol:         bluestein_single_back_len4096_dim1_dp_op_CI_CI.kd
    .uniform_work_group_size: 1
    .uses_dynamic_stack: false
    .vgpr_count:     256
    .vgpr_spill_count: 44
    .wavefront_size: 32
    .workgroup_processor_mode: 1
amdhsa.target:   amdgcn-amd-amdhsa--gfx1030
amdhsa.version:
  - 1
  - 2
...

	.end_amdgpu_metadata
